;; amdgpu-corpus repo=ROCm/rocSPARSE kind=compiled arch=gfx1250 opt=O3
	.amdgcn_target "amdgcn-amd-amdhsa--gfx1250"
	.amdhsa_code_object_version 6
	.section	.text._ZN9rocsparseL33gebsrmm_large_blockdim_kernel_extILi8ELi8ELi2EfEEv20rocsparse_direction_20rocsparse_operation_iiNS_24const_host_device_scalarIT2_EEPKiS7_PKS4_iiS9_lS5_PS4_l21rocsparse_index_base_b,"axG",@progbits,_ZN9rocsparseL33gebsrmm_large_blockdim_kernel_extILi8ELi8ELi2EfEEv20rocsparse_direction_20rocsparse_operation_iiNS_24const_host_device_scalarIT2_EEPKiS7_PKS4_iiS9_lS5_PS4_l21rocsparse_index_base_b,comdat
	.globl	_ZN9rocsparseL33gebsrmm_large_blockdim_kernel_extILi8ELi8ELi2EfEEv20rocsparse_direction_20rocsparse_operation_iiNS_24const_host_device_scalarIT2_EEPKiS7_PKS4_iiS9_lS5_PS4_l21rocsparse_index_base_b ; -- Begin function _ZN9rocsparseL33gebsrmm_large_blockdim_kernel_extILi8ELi8ELi2EfEEv20rocsparse_direction_20rocsparse_operation_iiNS_24const_host_device_scalarIT2_EEPKiS7_PKS4_iiS9_lS5_PS4_l21rocsparse_index_base_b
	.p2align	8
	.type	_ZN9rocsparseL33gebsrmm_large_blockdim_kernel_extILi8ELi8ELi2EfEEv20rocsparse_direction_20rocsparse_operation_iiNS_24const_host_device_scalarIT2_EEPKiS7_PKS4_iiS9_lS5_PS4_l21rocsparse_index_base_b,@function
_ZN9rocsparseL33gebsrmm_large_blockdim_kernel_extILi8ELi8ELi2EfEEv20rocsparse_direction_20rocsparse_operation_iiNS_24const_host_device_scalarIT2_EEPKiS7_PKS4_iiS9_lS5_PS4_l21rocsparse_index_base_b: ; @_ZN9rocsparseL33gebsrmm_large_blockdim_kernel_extILi8ELi8ELi2EfEEv20rocsparse_direction_20rocsparse_operation_iiNS_24const_host_device_scalarIT2_EEPKiS7_PKS4_iiS9_lS5_PS4_l21rocsparse_index_base_b
; %bb.0:
	s_clause 0x2
	s_load_b64 s[20:21], s[0:1], 0x60
	s_load_b64 s[6:7], s[0:1], 0x10
	s_load_b128 s[8:11], s[0:1], 0x40
	s_wait_kmcnt 0x0
	s_bitcmp1_b32 s21, 0
	s_cselect_b32 s2, -1, 0
	s_delay_alu instid0(SALU_CYCLE_1)
	s_and_b32 vcc_lo, exec_lo, s2
	s_xor_b32 s2, s2, -1
	s_cbranch_vccnz .LBB0_2
; %bb.1:
	s_load_b32 s6, s[6:7], 0x0
.LBB0_2:
	s_and_not1_b32 vcc_lo, exec_lo, s2
	s_cbranch_vccnz .LBB0_4
; %bb.3:
	s_load_b32 s10, s[10:11], 0x0
.LBB0_4:
	s_wait_kmcnt 0x0
	s_cmp_eq_f32 s6, 0
	s_mov_b32 s24, 0
	s_cselect_b32 s2, -1, 0
	s_cmp_eq_f32 s10, 1.0
	s_cselect_b32 s3, -1, 0
	s_delay_alu instid0(SALU_CYCLE_1) | instskip(NEXT) | instid1(SALU_CYCLE_1)
	s_and_b32 s2, s2, s3
	s_and_b32 vcc_lo, exec_lo, s2
	s_cbranch_vccnz .LBB0_45
; %bb.5:
	s_load_b128 s[16:19], s[0:1], 0x0
	s_bfe_u32 s2, ttmp6, 0x4000c
	s_and_b32 s3, ttmp6, 15
	s_add_co_i32 s2, s2, 1
	s_mov_b32 s11, 0
	s_mul_i32 s4, ttmp9, s2
	s_getreg_b32 s2, hwreg(HW_REG_IB_STS2, 6, 4)
	s_add_co_i32 s3, s3, s4
	s_cmp_eq_u32 s2, 0
	s_cselect_b32 s22, ttmp9, s3
	s_wait_kmcnt 0x0
	s_cmp_lt_i32 s22, s18
	s_cselect_b32 s7, -1, 0
	s_cmp_ge_i32 s22, s18
	s_cbranch_scc1 .LBB0_7
; %bb.6:
	s_load_b64 s[4:5], s[0:1], 0x18
	s_ashr_i32 s23, s22, 31
	s_delay_alu instid0(SALU_CYCLE_1)
	s_lshl_b64 s[12:13], s[22:23], 2
	s_wait_kmcnt 0x0
	s_add_nc_u64 s[4:5], s[4:5], s[12:13]
	s_load_b64 s[12:13], s[4:5], 0x0
	s_wait_kmcnt 0x0
	s_sub_co_i32 s24, s12, s20
	s_sub_co_i32 s11, s13, s20
.LBB0_7:
	s_bfe_u32 s3, ttmp6, 0x40010
	s_load_b64 s[26:27], s[0:1], 0x30
	s_add_co_i32 s3, s3, 1
	s_bfe_u32 s4, ttmp6, 0x40004
	s_mul_i32 s3, ttmp7, s3
	v_bfe_u32 v1, v0, 10, 10
	s_add_co_i32 s4, s4, s3
	s_cmp_eq_u32 s2, 0
	v_and_b32_e32 v16, 0x3ff, v0
	s_cselect_b32 s2, ttmp7, s4
	s_cmp_ge_i32 s24, s11
	v_lshl_add_u32 v4, s2, 4, v1
	s_delay_alu instid0(VALU_DEP_1) | instskip(SKIP_3) | instid1(VALU_DEP_3)
	v_add_nc_u32_e32 v2, 8, v4
	v_cmp_gt_i32_e64 s3, s19, v4
	s_wait_kmcnt 0x0
	v_cmp_gt_i32_e64 s4, s26, v16
	v_cmp_gt_i32_e64 s2, s19, v2
	s_cbranch_scc1 .LBB0_35
; %bb.8:
	v_dual_ashrrev_i32 v5, 31, v4 :: v_dual_ashrrev_i32 v3, 31, v2
	v_cmp_gt_i32_e32 vcc_lo, s27, v1
	s_clause 0x1
	s_load_b128 s[12:15], s[0:1], 0x20
	s_load_b64 s[18:19], s[0:1], 0x38
	v_mad_u32 v0, s26, v1, v16
	v_mul_u64_e32 v[6:7], s[8:9], v[4:5]
	v_mul_u64_e32 v[8:9], s[8:9], v[2:3]
	v_mad_u32 v10, s27, v16, v1
	s_and_b32 s21, s4, vcc_lo
	s_cmp_lg_u32 s17, 0x6f
	v_lshl_add_u32 v11, v1, 2, 0x200
	s_cselect_b32 s17, -1, 0
	s_cmp_eq_u32 s16, 0
	v_dual_lshlrev_b32 v17, 5, v1 :: v_dual_lshlrev_b32 v12, 5, v16
	s_cselect_b32 vcc_lo, -1, 0
	v_lshlrev_b32_e32 v13, 2, v16
	s_cmp_gt_i32 s27, 0
	s_delay_alu instid0(VALU_DEP_4)
	v_cndmask_b32_e32 v18, v0, v10, vcc_lo
	v_mov_b64_e32 v[0:1], 0
	v_cmp_gt_i32_e64 s5, s27, v16
	v_add_nc_u32_e32 v19, 0x200, v12
	v_add_nc_u32_e32 v20, 0x100, v17
	v_dual_add_nc_u32 v21, v13, v17 :: v_dual_add_nc_u32 v22, v11, v12
	s_cselect_b32 s25, -1, 0
	s_mul_i32 s16, s27, s26
	s_and_b32 s23, s3, s25
	s_and_b32 s28, s2, s25
	s_branch .LBB0_11
.LBB0_9:                                ;   in Loop: Header=BB0_11 Depth=1
	s_or_b32 exec_lo, exec_lo, s29
.LBB0_10:                               ;   in Loop: Header=BB0_11 Depth=1
	s_delay_alu instid0(SALU_CYCLE_1) | instskip(SKIP_1) | instid1(SALU_CYCLE_1)
	s_or_b32 exec_lo, exec_lo, s25
	s_add_co_i32 s24, s24, 1
	s_cmp_ge_i32 s24, s11
	s_barrier_signal -1
	s_barrier_wait -1
	s_cbranch_scc1 .LBB0_36
.LBB0_11:                               ; =>This Loop Header: Depth=1
                                        ;     Child Loop BB0_31 Depth 2
                                        ;     Child Loop BB0_34 Depth 2
	s_and_saveexec_b32 s29, s5
	s_cbranch_execz .LBB0_26
; %bb.12:                               ;   in Loop: Header=BB0_11 Depth=1
	s_ashr_i32 s25, s24, 31
	s_and_not1_b32 vcc_lo, exec_lo, s17
	s_lshl_b64 s[30:31], s[24:25], 2
	s_wait_kmcnt 0x0
	s_add_nc_u64 s[30:31], s[12:13], s[30:31]
	s_load_b32 s25, s[30:31], 0x0
	s_wait_kmcnt 0x0
	s_sub_co_i32 s25, s25, s20
	s_delay_alu instid0(SALU_CYCLE_1) | instskip(NEXT) | instid1(VALU_DEP_1)
	v_mad_u32 v10, s25, s27, v16
	v_ashrrev_i32_e32 v11, 31, v10
	s_cbranch_vccnz .LBB0_18
; %bb.13:                               ;   in Loop: Header=BB0_11 Depth=1
	s_delay_alu instid0(VALU_DEP_1) | instskip(NEXT) | instid1(VALU_DEP_1)
	v_mul_u64_e32 v[12:13], s[8:9], v[10:11]
	v_lshl_add_u64 v[14:15], v[12:13], 2, s[18:19]
	s_and_saveexec_b32 s25, s3
	s_cbranch_execz .LBB0_15
; %bb.14:                               ;   in Loop: Header=BB0_11 Depth=1
	s_delay_alu instid0(VALU_DEP_1)
	v_lshl_add_u64 v[12:13], v[4:5], 2, v[14:15]
	global_load_b32 v12, v[12:13], off
	s_wait_loadcnt 0x0
	ds_store_b32 v21, v12
.LBB0_15:                               ;   in Loop: Header=BB0_11 Depth=1
	s_or_b32 exec_lo, exec_lo, s25
	s_mov_b32 s30, 0
	s_mov_b32 s25, 0
                                        ; implicit-def: $vgpr12_vgpr13
	s_and_saveexec_b32 s31, s2
	s_delay_alu instid0(SALU_CYCLE_1)
	s_xor_b32 s31, exec_lo, s31
; %bb.16:                               ;   in Loop: Header=BB0_11 Depth=1
	v_lshl_add_u64 v[12:13], v[2:3], 2, v[14:15]
	s_mov_b32 s25, exec_lo
; %bb.17:                               ;   in Loop: Header=BB0_11 Depth=1
	s_or_b32 exec_lo, exec_lo, s31
	s_delay_alu instid0(SALU_CYCLE_1)
	s_and_b32 vcc_lo, exec_lo, s30
	s_cbranch_vccnz .LBB0_19
	s_branch .LBB0_24
.LBB0_18:                               ;   in Loop: Header=BB0_11 Depth=1
	s_mov_b32 s25, 0
                                        ; implicit-def: $vgpr12_vgpr13
	s_cbranch_execz .LBB0_24
.LBB0_19:                               ;   in Loop: Header=BB0_11 Depth=1
	s_delay_alu instid0(VALU_DEP_1)
	v_lshl_add_u64 v[10:11], v[10:11], 2, s[18:19]
	s_and_saveexec_b32 s30, s3
	s_cbranch_execz .LBB0_21
; %bb.20:                               ;   in Loop: Header=BB0_11 Depth=1
	s_delay_alu instid0(VALU_DEP_1)
	v_lshl_add_u64 v[12:13], v[6:7], 2, v[10:11]
	global_load_b32 v12, v[12:13], off
	s_wait_loadcnt 0x0
	ds_store_b32 v21, v12
.LBB0_21:                               ;   in Loop: Header=BB0_11 Depth=1
	s_or_b32 exec_lo, exec_lo, s30
                                        ; implicit-def: $vgpr12_vgpr13
	s_and_saveexec_b32 s30, s2
; %bb.22:                               ;   in Loop: Header=BB0_11 Depth=1
	v_lshl_add_u64 v[12:13], v[8:9], 2, v[10:11]
	s_or_b32 s25, s25, exec_lo
; %bb.23:                               ;   in Loop: Header=BB0_11 Depth=1
	s_or_b32 exec_lo, exec_lo, s30
.LBB0_24:                               ;   in Loop: Header=BB0_11 Depth=1
	s_delay_alu instid0(SALU_CYCLE_1)
	s_and_b32 exec_lo, exec_lo, s25
	s_cbranch_execz .LBB0_26
; %bb.25:                               ;   in Loop: Header=BB0_11 Depth=1
	global_load_b32 v10, v[12:13], off
	s_wait_loadcnt 0x0
	ds_store_b32 v21, v10 offset:256
.LBB0_26:                               ;   in Loop: Header=BB0_11 Depth=1
	s_or_b32 exec_lo, exec_lo, s29
	s_and_saveexec_b32 s25, s21
	s_cbranch_execz .LBB0_28
; %bb.27:                               ;   in Loop: Header=BB0_11 Depth=1
	v_mad_u32 v10, s16, s24, v18
	s_wait_kmcnt 0x0
	global_load_b32 v10, v10, s[14:15] scale_offset
	s_wait_loadcnt 0x0
	ds_store_b32 v22, v10
.LBB0_28:                               ;   in Loop: Header=BB0_11 Depth=1
	s_or_b32 exec_lo, exec_lo, s25
	s_wait_dscnt 0x0
	s_barrier_signal -1
	s_barrier_wait -1
	s_and_saveexec_b32 s25, s4
	s_cbranch_execz .LBB0_10
; %bb.29:                               ;   in Loop: Header=BB0_11 Depth=1
	s_and_saveexec_b32 s29, s23
	s_cbranch_execz .LBB0_32
; %bb.30:                               ;   in Loop: Header=BB0_11 Depth=1
	v_dual_mov_b32 v10, v19 :: v_dual_mov_b32 v11, v17
	s_mov_b32 s30, s27
.LBB0_31:                               ;   Parent Loop BB0_11 Depth=1
                                        ; =>  This Inner Loop Header: Depth=2
	ds_load_b32 v12, v10
	ds_load_b32 v13, v11
	v_dual_add_nc_u32 v11, 4, v11 :: v_dual_add_nc_u32 v10, 4, v10
	s_add_co_i32 s30, s30, -1
	s_delay_alu instid0(SALU_CYCLE_1)
	s_cmp_lg_u32 s30, 0
	s_wait_dscnt 0x0
	v_fma_f32 v0, v12, v13, v0
	s_cbranch_scc1 .LBB0_31
.LBB0_32:                               ;   in Loop: Header=BB0_11 Depth=1
	s_or_b32 exec_lo, exec_lo, s29
	s_and_saveexec_b32 s29, s28
	s_cbranch_execz .LBB0_9
; %bb.33:                               ;   in Loop: Header=BB0_11 Depth=1
	v_dual_mov_b32 v10, v19 :: v_dual_mov_b32 v11, v20
	s_mov_b32 s30, s27
.LBB0_34:                               ;   Parent Loop BB0_11 Depth=1
                                        ; =>  This Inner Loop Header: Depth=2
	ds_load_b32 v12, v10
	ds_load_b32 v13, v11
	v_dual_add_nc_u32 v11, 4, v11 :: v_dual_add_nc_u32 v10, 4, v10
	s_add_co_i32 s30, s30, -1
	s_delay_alu instid0(SALU_CYCLE_1)
	s_cmp_lg_u32 s30, 0
	s_wait_dscnt 0x0
	v_fma_f32 v1, v12, v13, v1
	s_cbranch_scc1 .LBB0_34
	s_branch .LBB0_9
.LBB0_35:
	v_mov_b64_e32 v[0:1], 0
.LBB0_36:
	s_load_b64 s[8:9], s[0:1], 0x50
	s_and_b32 s4, s7, s4
	s_delay_alu instid0(SALU_CYCLE_1)
	s_and_saveexec_b32 s5, s4
	s_cbranch_execz .LBB0_45
; %bb.37:
	v_mad_u32 v6, s26, s22, v16
	s_wait_xcnt 0x0
	s_load_b64 s[0:1], s[0:1], 0x58
	s_cmp_neq_f32 s10, 0
	s_cselect_b32 s4, -1, 0
	s_delay_alu instid0(VALU_DEP_1) | instskip(SKIP_1) | instid1(VALU_DEP_1)
	v_ashrrev_i32_e32 v7, 31, v6
	s_wait_kmcnt 0x0
	v_lshl_add_u64 v[6:7], v[6:7], 2, s[8:9]
	s_and_saveexec_b32 s5, s3
	s_cbranch_execz .LBB0_41
; %bb.38:
	v_ashrrev_i32_e32 v5, 31, v4
	v_mul_f32_e32 v0, s6, v0
	s_and_b32 vcc_lo, exec_lo, s4
	s_cbranch_vccz .LBB0_46
; %bb.39:
	s_delay_alu instid0(VALU_DEP_2) | instskip(NEXT) | instid1(VALU_DEP_1)
	v_mul_u64_e32 v[8:9], s[0:1], v[4:5]
	v_lshl_add_u64 v[8:9], v[8:9], 2, v[6:7]
	global_load_b32 v3, v[8:9], off
	s_wait_loadcnt 0x0
	v_fma_f32 v3, s10, v3, v0
	global_store_b32 v[8:9], v3, off
	s_cbranch_execnz .LBB0_41
.LBB0_40:
	v_mul_u64_e32 v[4:5], s[0:1], v[4:5]
	s_delay_alu instid0(VALU_DEP_1)
	v_lshl_add_u64 v[4:5], v[4:5], 2, v[6:7]
	global_store_b32 v[4:5], v0, off
.LBB0_41:
	s_wait_xcnt 0x0
	s_or_b32 exec_lo, exec_lo, s5
	s_delay_alu instid0(SALU_CYCLE_1)
	s_and_b32 exec_lo, exec_lo, s2
	s_cbranch_execz .LBB0_45
; %bb.42:
	v_dual_mul_f32 v0, s6, v1 :: v_dual_ashrrev_i32 v3, 31, v2
	s_and_not1_b32 vcc_lo, exec_lo, s4
	s_cbranch_vccnz .LBB0_47
; %bb.43:
	s_delay_alu instid0(VALU_DEP_1) | instskip(NEXT) | instid1(VALU_DEP_1)
	v_mul_u64_e32 v[4:5], s[0:1], v[2:3]
	v_lshl_add_u64 v[4:5], v[4:5], 2, v[6:7]
	global_load_b32 v1, v[4:5], off
	s_wait_loadcnt 0x0
	v_fma_f32 v1, s10, v1, v0
	global_store_b32 v[4:5], v1, off
	s_cbranch_execnz .LBB0_45
.LBB0_44:
	s_delay_alu instid0(VALU_DEP_1) | instskip(NEXT) | instid1(VALU_DEP_1)
	v_mul_u64_e32 v[2:3], s[0:1], v[2:3]
	v_lshl_add_u64 v[2:3], v[2:3], 2, v[6:7]
	global_store_b32 v[2:3], v0, off
.LBB0_45:
	s_endpgm
.LBB0_46:
	s_branch .LBB0_40
.LBB0_47:
	s_branch .LBB0_44
	.section	.rodata,"a",@progbits
	.p2align	6, 0x0
	.amdhsa_kernel _ZN9rocsparseL33gebsrmm_large_blockdim_kernel_extILi8ELi8ELi2EfEEv20rocsparse_direction_20rocsparse_operation_iiNS_24const_host_device_scalarIT2_EEPKiS7_PKS4_iiS9_lS5_PS4_l21rocsparse_index_base_b
		.amdhsa_group_segment_fixed_size 768
		.amdhsa_private_segment_fixed_size 0
		.amdhsa_kernarg_size 104
		.amdhsa_user_sgpr_count 2
		.amdhsa_user_sgpr_dispatch_ptr 0
		.amdhsa_user_sgpr_queue_ptr 0
		.amdhsa_user_sgpr_kernarg_segment_ptr 1
		.amdhsa_user_sgpr_dispatch_id 0
		.amdhsa_user_sgpr_kernarg_preload_length 0
		.amdhsa_user_sgpr_kernarg_preload_offset 0
		.amdhsa_user_sgpr_private_segment_size 0
		.amdhsa_wavefront_size32 1
		.amdhsa_uses_dynamic_stack 0
		.amdhsa_enable_private_segment 0
		.amdhsa_system_sgpr_workgroup_id_x 1
		.amdhsa_system_sgpr_workgroup_id_y 1
		.amdhsa_system_sgpr_workgroup_id_z 0
		.amdhsa_system_sgpr_workgroup_info 0
		.amdhsa_system_vgpr_workitem_id 1
		.amdhsa_next_free_vgpr 23
		.amdhsa_next_free_sgpr 32
		.amdhsa_named_barrier_count 0
		.amdhsa_reserve_vcc 1
		.amdhsa_float_round_mode_32 0
		.amdhsa_float_round_mode_16_64 0
		.amdhsa_float_denorm_mode_32 3
		.amdhsa_float_denorm_mode_16_64 3
		.amdhsa_fp16_overflow 0
		.amdhsa_memory_ordered 1
		.amdhsa_forward_progress 1
		.amdhsa_inst_pref_size 12
		.amdhsa_round_robin_scheduling 0
		.amdhsa_exception_fp_ieee_invalid_op 0
		.amdhsa_exception_fp_denorm_src 0
		.amdhsa_exception_fp_ieee_div_zero 0
		.amdhsa_exception_fp_ieee_overflow 0
		.amdhsa_exception_fp_ieee_underflow 0
		.amdhsa_exception_fp_ieee_inexact 0
		.amdhsa_exception_int_div_zero 0
	.end_amdhsa_kernel
	.section	.text._ZN9rocsparseL33gebsrmm_large_blockdim_kernel_extILi8ELi8ELi2EfEEv20rocsparse_direction_20rocsparse_operation_iiNS_24const_host_device_scalarIT2_EEPKiS7_PKS4_iiS9_lS5_PS4_l21rocsparse_index_base_b,"axG",@progbits,_ZN9rocsparseL33gebsrmm_large_blockdim_kernel_extILi8ELi8ELi2EfEEv20rocsparse_direction_20rocsparse_operation_iiNS_24const_host_device_scalarIT2_EEPKiS7_PKS4_iiS9_lS5_PS4_l21rocsparse_index_base_b,comdat
.Lfunc_end0:
	.size	_ZN9rocsparseL33gebsrmm_large_blockdim_kernel_extILi8ELi8ELi2EfEEv20rocsparse_direction_20rocsparse_operation_iiNS_24const_host_device_scalarIT2_EEPKiS7_PKS4_iiS9_lS5_PS4_l21rocsparse_index_base_b, .Lfunc_end0-_ZN9rocsparseL33gebsrmm_large_blockdim_kernel_extILi8ELi8ELi2EfEEv20rocsparse_direction_20rocsparse_operation_iiNS_24const_host_device_scalarIT2_EEPKiS7_PKS4_iiS9_lS5_PS4_l21rocsparse_index_base_b
                                        ; -- End function
	.set _ZN9rocsparseL33gebsrmm_large_blockdim_kernel_extILi8ELi8ELi2EfEEv20rocsparse_direction_20rocsparse_operation_iiNS_24const_host_device_scalarIT2_EEPKiS7_PKS4_iiS9_lS5_PS4_l21rocsparse_index_base_b.num_vgpr, 23
	.set _ZN9rocsparseL33gebsrmm_large_blockdim_kernel_extILi8ELi8ELi2EfEEv20rocsparse_direction_20rocsparse_operation_iiNS_24const_host_device_scalarIT2_EEPKiS7_PKS4_iiS9_lS5_PS4_l21rocsparse_index_base_b.num_agpr, 0
	.set _ZN9rocsparseL33gebsrmm_large_blockdim_kernel_extILi8ELi8ELi2EfEEv20rocsparse_direction_20rocsparse_operation_iiNS_24const_host_device_scalarIT2_EEPKiS7_PKS4_iiS9_lS5_PS4_l21rocsparse_index_base_b.numbered_sgpr, 32
	.set _ZN9rocsparseL33gebsrmm_large_blockdim_kernel_extILi8ELi8ELi2EfEEv20rocsparse_direction_20rocsparse_operation_iiNS_24const_host_device_scalarIT2_EEPKiS7_PKS4_iiS9_lS5_PS4_l21rocsparse_index_base_b.num_named_barrier, 0
	.set _ZN9rocsparseL33gebsrmm_large_blockdim_kernel_extILi8ELi8ELi2EfEEv20rocsparse_direction_20rocsparse_operation_iiNS_24const_host_device_scalarIT2_EEPKiS7_PKS4_iiS9_lS5_PS4_l21rocsparse_index_base_b.private_seg_size, 0
	.set _ZN9rocsparseL33gebsrmm_large_blockdim_kernel_extILi8ELi8ELi2EfEEv20rocsparse_direction_20rocsparse_operation_iiNS_24const_host_device_scalarIT2_EEPKiS7_PKS4_iiS9_lS5_PS4_l21rocsparse_index_base_b.uses_vcc, 1
	.set _ZN9rocsparseL33gebsrmm_large_blockdim_kernel_extILi8ELi8ELi2EfEEv20rocsparse_direction_20rocsparse_operation_iiNS_24const_host_device_scalarIT2_EEPKiS7_PKS4_iiS9_lS5_PS4_l21rocsparse_index_base_b.uses_flat_scratch, 0
	.set _ZN9rocsparseL33gebsrmm_large_blockdim_kernel_extILi8ELi8ELi2EfEEv20rocsparse_direction_20rocsparse_operation_iiNS_24const_host_device_scalarIT2_EEPKiS7_PKS4_iiS9_lS5_PS4_l21rocsparse_index_base_b.has_dyn_sized_stack, 0
	.set _ZN9rocsparseL33gebsrmm_large_blockdim_kernel_extILi8ELi8ELi2EfEEv20rocsparse_direction_20rocsparse_operation_iiNS_24const_host_device_scalarIT2_EEPKiS7_PKS4_iiS9_lS5_PS4_l21rocsparse_index_base_b.has_recursion, 0
	.set _ZN9rocsparseL33gebsrmm_large_blockdim_kernel_extILi8ELi8ELi2EfEEv20rocsparse_direction_20rocsparse_operation_iiNS_24const_host_device_scalarIT2_EEPKiS7_PKS4_iiS9_lS5_PS4_l21rocsparse_index_base_b.has_indirect_call, 0
	.section	.AMDGPU.csdata,"",@progbits
; Kernel info:
; codeLenInByte = 1416
; TotalNumSgprs: 34
; NumVgprs: 23
; ScratchSize: 0
; MemoryBound: 0
; FloatMode: 240
; IeeeMode: 1
; LDSByteSize: 768 bytes/workgroup (compile time only)
; SGPRBlocks: 0
; VGPRBlocks: 1
; NumSGPRsForWavesPerEU: 34
; NumVGPRsForWavesPerEU: 23
; NamedBarCnt: 0
; Occupancy: 16
; WaveLimiterHint : 1
; COMPUTE_PGM_RSRC2:SCRATCH_EN: 0
; COMPUTE_PGM_RSRC2:USER_SGPR: 2
; COMPUTE_PGM_RSRC2:TRAP_HANDLER: 0
; COMPUTE_PGM_RSRC2:TGID_X_EN: 1
; COMPUTE_PGM_RSRC2:TGID_Y_EN: 1
; COMPUTE_PGM_RSRC2:TGID_Z_EN: 0
; COMPUTE_PGM_RSRC2:TIDIG_COMP_CNT: 1
	.section	.text._ZN9rocsparseL33gebsrmm_large_blockdim_kernel_extILi16ELi16ELi2EfEEv20rocsparse_direction_20rocsparse_operation_iiNS_24const_host_device_scalarIT2_EEPKiS7_PKS4_iiS9_lS5_PS4_l21rocsparse_index_base_b,"axG",@progbits,_ZN9rocsparseL33gebsrmm_large_blockdim_kernel_extILi16ELi16ELi2EfEEv20rocsparse_direction_20rocsparse_operation_iiNS_24const_host_device_scalarIT2_EEPKiS7_PKS4_iiS9_lS5_PS4_l21rocsparse_index_base_b,comdat
	.globl	_ZN9rocsparseL33gebsrmm_large_blockdim_kernel_extILi16ELi16ELi2EfEEv20rocsparse_direction_20rocsparse_operation_iiNS_24const_host_device_scalarIT2_EEPKiS7_PKS4_iiS9_lS5_PS4_l21rocsparse_index_base_b ; -- Begin function _ZN9rocsparseL33gebsrmm_large_blockdim_kernel_extILi16ELi16ELi2EfEEv20rocsparse_direction_20rocsparse_operation_iiNS_24const_host_device_scalarIT2_EEPKiS7_PKS4_iiS9_lS5_PS4_l21rocsparse_index_base_b
	.p2align	8
	.type	_ZN9rocsparseL33gebsrmm_large_blockdim_kernel_extILi16ELi16ELi2EfEEv20rocsparse_direction_20rocsparse_operation_iiNS_24const_host_device_scalarIT2_EEPKiS7_PKS4_iiS9_lS5_PS4_l21rocsparse_index_base_b,@function
_ZN9rocsparseL33gebsrmm_large_blockdim_kernel_extILi16ELi16ELi2EfEEv20rocsparse_direction_20rocsparse_operation_iiNS_24const_host_device_scalarIT2_EEPKiS7_PKS4_iiS9_lS5_PS4_l21rocsparse_index_base_b: ; @_ZN9rocsparseL33gebsrmm_large_blockdim_kernel_extILi16ELi16ELi2EfEEv20rocsparse_direction_20rocsparse_operation_iiNS_24const_host_device_scalarIT2_EEPKiS7_PKS4_iiS9_lS5_PS4_l21rocsparse_index_base_b
; %bb.0:
	s_clause 0x2
	s_load_b64 s[20:21], s[0:1], 0x60
	s_load_b64 s[6:7], s[0:1], 0x10
	s_load_b128 s[8:11], s[0:1], 0x40
	s_wait_kmcnt 0x0
	s_bitcmp1_b32 s21, 0
	s_cselect_b32 s2, -1, 0
	s_delay_alu instid0(SALU_CYCLE_1)
	s_and_b32 vcc_lo, exec_lo, s2
	s_xor_b32 s2, s2, -1
	s_cbranch_vccnz .LBB1_2
; %bb.1:
	s_load_b32 s6, s[6:7], 0x0
.LBB1_2:
	s_and_not1_b32 vcc_lo, exec_lo, s2
	s_cbranch_vccnz .LBB1_4
; %bb.3:
	s_load_b32 s10, s[10:11], 0x0
.LBB1_4:
	s_wait_kmcnt 0x0
	s_cmp_eq_f32 s6, 0
	s_mov_b32 s24, 0
	s_cselect_b32 s2, -1, 0
	s_cmp_eq_f32 s10, 1.0
	s_cselect_b32 s3, -1, 0
	s_delay_alu instid0(SALU_CYCLE_1) | instskip(NEXT) | instid1(SALU_CYCLE_1)
	s_and_b32 s2, s2, s3
	s_and_b32 vcc_lo, exec_lo, s2
	s_cbranch_vccnz .LBB1_45
; %bb.5:
	s_load_b128 s[16:19], s[0:1], 0x0
	s_bfe_u32 s2, ttmp6, 0x4000c
	s_and_b32 s3, ttmp6, 15
	s_add_co_i32 s2, s2, 1
	s_mov_b32 s11, 0
	s_mul_i32 s4, ttmp9, s2
	s_getreg_b32 s2, hwreg(HW_REG_IB_STS2, 6, 4)
	s_add_co_i32 s3, s3, s4
	s_cmp_eq_u32 s2, 0
	s_cselect_b32 s22, ttmp9, s3
	s_wait_kmcnt 0x0
	s_cmp_lt_i32 s22, s18
	s_cselect_b32 s7, -1, 0
	s_cmp_ge_i32 s22, s18
	s_cbranch_scc1 .LBB1_7
; %bb.6:
	s_load_b64 s[4:5], s[0:1], 0x18
	s_ashr_i32 s23, s22, 31
	s_delay_alu instid0(SALU_CYCLE_1)
	s_lshl_b64 s[12:13], s[22:23], 2
	s_wait_kmcnt 0x0
	s_add_nc_u64 s[4:5], s[4:5], s[12:13]
	s_load_b64 s[12:13], s[4:5], 0x0
	s_wait_kmcnt 0x0
	s_sub_co_i32 s24, s12, s20
	s_sub_co_i32 s11, s13, s20
.LBB1_7:
	s_bfe_u32 s3, ttmp6, 0x40010
	s_load_b64 s[26:27], s[0:1], 0x30
	s_add_co_i32 s3, s3, 1
	s_bfe_u32 s4, ttmp6, 0x40004
	s_mul_i32 s3, ttmp7, s3
	v_bfe_u32 v1, v0, 10, 10
	s_add_co_i32 s4, s4, s3
	s_cmp_eq_u32 s2, 0
	v_and_b32_e32 v16, 0x3ff, v0
	s_cselect_b32 s2, ttmp7, s4
	s_cmp_ge_i32 s24, s11
	v_lshl_add_u32 v4, s2, 5, v1
	s_delay_alu instid0(VALU_DEP_1) | instskip(SKIP_3) | instid1(VALU_DEP_3)
	v_add_nc_u32_e32 v2, 16, v4
	v_cmp_gt_i32_e64 s3, s19, v4
	s_wait_kmcnt 0x0
	v_cmp_gt_i32_e64 s4, s26, v16
	v_cmp_gt_i32_e64 s2, s19, v2
	s_cbranch_scc1 .LBB1_35
; %bb.8:
	v_dual_ashrrev_i32 v5, 31, v4 :: v_dual_ashrrev_i32 v3, 31, v2
	v_cmp_gt_i32_e32 vcc_lo, s27, v1
	s_clause 0x1
	s_load_b128 s[12:15], s[0:1], 0x20
	s_load_b64 s[18:19], s[0:1], 0x38
	v_mad_u32 v0, s26, v1, v16
	v_mul_u64_e32 v[6:7], s[8:9], v[4:5]
	v_mul_u64_e32 v[8:9], s[8:9], v[2:3]
	v_mad_u32 v10, s27, v16, v1
	s_and_b32 s21, s4, vcc_lo
	s_cmp_lg_u32 s17, 0x6f
	v_lshl_add_u32 v11, v1, 2, 0x800
	s_cselect_b32 s17, -1, 0
	s_cmp_eq_u32 s16, 0
	v_dual_lshlrev_b32 v17, 6, v1 :: v_dual_lshlrev_b32 v12, 6, v16
	s_cselect_b32 vcc_lo, -1, 0
	v_lshlrev_b32_e32 v13, 2, v16
	s_cmp_gt_i32 s27, 0
	s_delay_alu instid0(VALU_DEP_4)
	v_cndmask_b32_e32 v18, v0, v10, vcc_lo
	v_mov_b64_e32 v[0:1], 0
	v_cmp_gt_i32_e64 s5, s27, v16
	v_add_nc_u32_e32 v19, 0x800, v12
	v_add_nc_u32_e32 v20, 0x400, v17
	v_dual_add_nc_u32 v21, v13, v17 :: v_dual_add_nc_u32 v22, v11, v12
	s_cselect_b32 s25, -1, 0
	s_mul_i32 s16, s27, s26
	s_and_b32 s23, s3, s25
	s_and_b32 s28, s2, s25
	s_branch .LBB1_11
.LBB1_9:                                ;   in Loop: Header=BB1_11 Depth=1
	s_or_b32 exec_lo, exec_lo, s29
.LBB1_10:                               ;   in Loop: Header=BB1_11 Depth=1
	s_delay_alu instid0(SALU_CYCLE_1) | instskip(SKIP_1) | instid1(SALU_CYCLE_1)
	s_or_b32 exec_lo, exec_lo, s25
	s_add_co_i32 s24, s24, 1
	s_cmp_ge_i32 s24, s11
	s_barrier_signal -1
	s_barrier_wait -1
	s_cbranch_scc1 .LBB1_36
.LBB1_11:                               ; =>This Loop Header: Depth=1
                                        ;     Child Loop BB1_31 Depth 2
                                        ;     Child Loop BB1_34 Depth 2
	s_and_saveexec_b32 s29, s5
	s_cbranch_execz .LBB1_26
; %bb.12:                               ;   in Loop: Header=BB1_11 Depth=1
	s_ashr_i32 s25, s24, 31
	s_and_not1_b32 vcc_lo, exec_lo, s17
	s_lshl_b64 s[30:31], s[24:25], 2
	s_wait_kmcnt 0x0
	s_add_nc_u64 s[30:31], s[12:13], s[30:31]
	s_load_b32 s25, s[30:31], 0x0
	s_wait_kmcnt 0x0
	s_sub_co_i32 s25, s25, s20
	s_delay_alu instid0(SALU_CYCLE_1) | instskip(NEXT) | instid1(VALU_DEP_1)
	v_mad_u32 v10, s25, s27, v16
	v_ashrrev_i32_e32 v11, 31, v10
	s_cbranch_vccnz .LBB1_18
; %bb.13:                               ;   in Loop: Header=BB1_11 Depth=1
	s_delay_alu instid0(VALU_DEP_1) | instskip(NEXT) | instid1(VALU_DEP_1)
	v_mul_u64_e32 v[12:13], s[8:9], v[10:11]
	v_lshl_add_u64 v[14:15], v[12:13], 2, s[18:19]
	s_and_saveexec_b32 s25, s3
	s_cbranch_execz .LBB1_15
; %bb.14:                               ;   in Loop: Header=BB1_11 Depth=1
	s_delay_alu instid0(VALU_DEP_1)
	v_lshl_add_u64 v[12:13], v[4:5], 2, v[14:15]
	global_load_b32 v12, v[12:13], off
	s_wait_loadcnt 0x0
	ds_store_b32 v21, v12
.LBB1_15:                               ;   in Loop: Header=BB1_11 Depth=1
	s_or_b32 exec_lo, exec_lo, s25
	s_mov_b32 s30, 0
	s_mov_b32 s25, 0
                                        ; implicit-def: $vgpr12_vgpr13
	s_and_saveexec_b32 s31, s2
	s_delay_alu instid0(SALU_CYCLE_1)
	s_xor_b32 s31, exec_lo, s31
; %bb.16:                               ;   in Loop: Header=BB1_11 Depth=1
	v_lshl_add_u64 v[12:13], v[2:3], 2, v[14:15]
	s_mov_b32 s25, exec_lo
; %bb.17:                               ;   in Loop: Header=BB1_11 Depth=1
	s_or_b32 exec_lo, exec_lo, s31
	s_delay_alu instid0(SALU_CYCLE_1)
	s_and_b32 vcc_lo, exec_lo, s30
	s_cbranch_vccnz .LBB1_19
	s_branch .LBB1_24
.LBB1_18:                               ;   in Loop: Header=BB1_11 Depth=1
	s_mov_b32 s25, 0
                                        ; implicit-def: $vgpr12_vgpr13
	s_cbranch_execz .LBB1_24
.LBB1_19:                               ;   in Loop: Header=BB1_11 Depth=1
	s_delay_alu instid0(VALU_DEP_1)
	v_lshl_add_u64 v[10:11], v[10:11], 2, s[18:19]
	s_and_saveexec_b32 s30, s3
	s_cbranch_execz .LBB1_21
; %bb.20:                               ;   in Loop: Header=BB1_11 Depth=1
	s_delay_alu instid0(VALU_DEP_1)
	v_lshl_add_u64 v[12:13], v[6:7], 2, v[10:11]
	global_load_b32 v12, v[12:13], off
	s_wait_loadcnt 0x0
	ds_store_b32 v21, v12
.LBB1_21:                               ;   in Loop: Header=BB1_11 Depth=1
	s_or_b32 exec_lo, exec_lo, s30
                                        ; implicit-def: $vgpr12_vgpr13
	s_and_saveexec_b32 s30, s2
; %bb.22:                               ;   in Loop: Header=BB1_11 Depth=1
	v_lshl_add_u64 v[12:13], v[8:9], 2, v[10:11]
	s_or_b32 s25, s25, exec_lo
; %bb.23:                               ;   in Loop: Header=BB1_11 Depth=1
	s_or_b32 exec_lo, exec_lo, s30
.LBB1_24:                               ;   in Loop: Header=BB1_11 Depth=1
	s_delay_alu instid0(SALU_CYCLE_1)
	s_and_b32 exec_lo, exec_lo, s25
	s_cbranch_execz .LBB1_26
; %bb.25:                               ;   in Loop: Header=BB1_11 Depth=1
	global_load_b32 v10, v[12:13], off
	s_wait_loadcnt 0x0
	ds_store_b32 v21, v10 offset:1024
.LBB1_26:                               ;   in Loop: Header=BB1_11 Depth=1
	s_or_b32 exec_lo, exec_lo, s29
	s_and_saveexec_b32 s25, s21
	s_cbranch_execz .LBB1_28
; %bb.27:                               ;   in Loop: Header=BB1_11 Depth=1
	v_mad_u32 v10, s16, s24, v18
	s_wait_kmcnt 0x0
	global_load_b32 v10, v10, s[14:15] scale_offset
	s_wait_loadcnt 0x0
	ds_store_b32 v22, v10
.LBB1_28:                               ;   in Loop: Header=BB1_11 Depth=1
	s_or_b32 exec_lo, exec_lo, s25
	s_wait_dscnt 0x0
	s_barrier_signal -1
	s_barrier_wait -1
	s_and_saveexec_b32 s25, s4
	s_cbranch_execz .LBB1_10
; %bb.29:                               ;   in Loop: Header=BB1_11 Depth=1
	s_and_saveexec_b32 s29, s23
	s_cbranch_execz .LBB1_32
; %bb.30:                               ;   in Loop: Header=BB1_11 Depth=1
	v_dual_mov_b32 v10, v19 :: v_dual_mov_b32 v11, v17
	s_mov_b32 s30, s27
.LBB1_31:                               ;   Parent Loop BB1_11 Depth=1
                                        ; =>  This Inner Loop Header: Depth=2
	ds_load_b32 v12, v10
	ds_load_b32 v13, v11
	v_dual_add_nc_u32 v11, 4, v11 :: v_dual_add_nc_u32 v10, 4, v10
	s_add_co_i32 s30, s30, -1
	s_delay_alu instid0(SALU_CYCLE_1)
	s_cmp_lg_u32 s30, 0
	s_wait_dscnt 0x0
	v_fma_f32 v0, v12, v13, v0
	s_cbranch_scc1 .LBB1_31
.LBB1_32:                               ;   in Loop: Header=BB1_11 Depth=1
	s_or_b32 exec_lo, exec_lo, s29
	s_and_saveexec_b32 s29, s28
	s_cbranch_execz .LBB1_9
; %bb.33:                               ;   in Loop: Header=BB1_11 Depth=1
	v_dual_mov_b32 v10, v19 :: v_dual_mov_b32 v11, v20
	s_mov_b32 s30, s27
.LBB1_34:                               ;   Parent Loop BB1_11 Depth=1
                                        ; =>  This Inner Loop Header: Depth=2
	ds_load_b32 v12, v10
	ds_load_b32 v13, v11
	v_dual_add_nc_u32 v11, 4, v11 :: v_dual_add_nc_u32 v10, 4, v10
	s_add_co_i32 s30, s30, -1
	s_delay_alu instid0(SALU_CYCLE_1)
	s_cmp_lg_u32 s30, 0
	s_wait_dscnt 0x0
	v_fma_f32 v1, v12, v13, v1
	s_cbranch_scc1 .LBB1_34
	s_branch .LBB1_9
.LBB1_35:
	v_mov_b64_e32 v[0:1], 0
.LBB1_36:
	s_load_b64 s[8:9], s[0:1], 0x50
	s_and_b32 s4, s7, s4
	s_delay_alu instid0(SALU_CYCLE_1)
	s_and_saveexec_b32 s5, s4
	s_cbranch_execz .LBB1_45
; %bb.37:
	v_mad_u32 v6, s26, s22, v16
	s_wait_xcnt 0x0
	s_load_b64 s[0:1], s[0:1], 0x58
	s_cmp_neq_f32 s10, 0
	s_cselect_b32 s4, -1, 0
	s_delay_alu instid0(VALU_DEP_1) | instskip(SKIP_1) | instid1(VALU_DEP_1)
	v_ashrrev_i32_e32 v7, 31, v6
	s_wait_kmcnt 0x0
	v_lshl_add_u64 v[6:7], v[6:7], 2, s[8:9]
	s_and_saveexec_b32 s5, s3
	s_cbranch_execz .LBB1_41
; %bb.38:
	v_ashrrev_i32_e32 v5, 31, v4
	v_mul_f32_e32 v0, s6, v0
	s_and_b32 vcc_lo, exec_lo, s4
	s_cbranch_vccz .LBB1_46
; %bb.39:
	s_delay_alu instid0(VALU_DEP_2) | instskip(NEXT) | instid1(VALU_DEP_1)
	v_mul_u64_e32 v[8:9], s[0:1], v[4:5]
	v_lshl_add_u64 v[8:9], v[8:9], 2, v[6:7]
	global_load_b32 v3, v[8:9], off
	s_wait_loadcnt 0x0
	v_fma_f32 v3, s10, v3, v0
	global_store_b32 v[8:9], v3, off
	s_cbranch_execnz .LBB1_41
.LBB1_40:
	v_mul_u64_e32 v[4:5], s[0:1], v[4:5]
	s_delay_alu instid0(VALU_DEP_1)
	v_lshl_add_u64 v[4:5], v[4:5], 2, v[6:7]
	global_store_b32 v[4:5], v0, off
.LBB1_41:
	s_wait_xcnt 0x0
	s_or_b32 exec_lo, exec_lo, s5
	s_delay_alu instid0(SALU_CYCLE_1)
	s_and_b32 exec_lo, exec_lo, s2
	s_cbranch_execz .LBB1_45
; %bb.42:
	v_dual_mul_f32 v0, s6, v1 :: v_dual_ashrrev_i32 v3, 31, v2
	s_and_not1_b32 vcc_lo, exec_lo, s4
	s_cbranch_vccnz .LBB1_47
; %bb.43:
	s_delay_alu instid0(VALU_DEP_1) | instskip(NEXT) | instid1(VALU_DEP_1)
	v_mul_u64_e32 v[4:5], s[0:1], v[2:3]
	v_lshl_add_u64 v[4:5], v[4:5], 2, v[6:7]
	global_load_b32 v1, v[4:5], off
	s_wait_loadcnt 0x0
	v_fma_f32 v1, s10, v1, v0
	global_store_b32 v[4:5], v1, off
	s_cbranch_execnz .LBB1_45
.LBB1_44:
	s_delay_alu instid0(VALU_DEP_1) | instskip(NEXT) | instid1(VALU_DEP_1)
	v_mul_u64_e32 v[2:3], s[0:1], v[2:3]
	v_lshl_add_u64 v[2:3], v[2:3], 2, v[6:7]
	global_store_b32 v[2:3], v0, off
.LBB1_45:
	s_endpgm
.LBB1_46:
	s_branch .LBB1_40
.LBB1_47:
	s_branch .LBB1_44
	.section	.rodata,"a",@progbits
	.p2align	6, 0x0
	.amdhsa_kernel _ZN9rocsparseL33gebsrmm_large_blockdim_kernel_extILi16ELi16ELi2EfEEv20rocsparse_direction_20rocsparse_operation_iiNS_24const_host_device_scalarIT2_EEPKiS7_PKS4_iiS9_lS5_PS4_l21rocsparse_index_base_b
		.amdhsa_group_segment_fixed_size 3072
		.amdhsa_private_segment_fixed_size 0
		.amdhsa_kernarg_size 104
		.amdhsa_user_sgpr_count 2
		.amdhsa_user_sgpr_dispatch_ptr 0
		.amdhsa_user_sgpr_queue_ptr 0
		.amdhsa_user_sgpr_kernarg_segment_ptr 1
		.amdhsa_user_sgpr_dispatch_id 0
		.amdhsa_user_sgpr_kernarg_preload_length 0
		.amdhsa_user_sgpr_kernarg_preload_offset 0
		.amdhsa_user_sgpr_private_segment_size 0
		.amdhsa_wavefront_size32 1
		.amdhsa_uses_dynamic_stack 0
		.amdhsa_enable_private_segment 0
		.amdhsa_system_sgpr_workgroup_id_x 1
		.amdhsa_system_sgpr_workgroup_id_y 1
		.amdhsa_system_sgpr_workgroup_id_z 0
		.amdhsa_system_sgpr_workgroup_info 0
		.amdhsa_system_vgpr_workitem_id 1
		.amdhsa_next_free_vgpr 23
		.amdhsa_next_free_sgpr 32
		.amdhsa_named_barrier_count 0
		.amdhsa_reserve_vcc 1
		.amdhsa_float_round_mode_32 0
		.amdhsa_float_round_mode_16_64 0
		.amdhsa_float_denorm_mode_32 3
		.amdhsa_float_denorm_mode_16_64 3
		.amdhsa_fp16_overflow 0
		.amdhsa_memory_ordered 1
		.amdhsa_forward_progress 1
		.amdhsa_inst_pref_size 12
		.amdhsa_round_robin_scheduling 0
		.amdhsa_exception_fp_ieee_invalid_op 0
		.amdhsa_exception_fp_denorm_src 0
		.amdhsa_exception_fp_ieee_div_zero 0
		.amdhsa_exception_fp_ieee_overflow 0
		.amdhsa_exception_fp_ieee_underflow 0
		.amdhsa_exception_fp_ieee_inexact 0
		.amdhsa_exception_int_div_zero 0
	.end_amdhsa_kernel
	.section	.text._ZN9rocsparseL33gebsrmm_large_blockdim_kernel_extILi16ELi16ELi2EfEEv20rocsparse_direction_20rocsparse_operation_iiNS_24const_host_device_scalarIT2_EEPKiS7_PKS4_iiS9_lS5_PS4_l21rocsparse_index_base_b,"axG",@progbits,_ZN9rocsparseL33gebsrmm_large_blockdim_kernel_extILi16ELi16ELi2EfEEv20rocsparse_direction_20rocsparse_operation_iiNS_24const_host_device_scalarIT2_EEPKiS7_PKS4_iiS9_lS5_PS4_l21rocsparse_index_base_b,comdat
.Lfunc_end1:
	.size	_ZN9rocsparseL33gebsrmm_large_blockdim_kernel_extILi16ELi16ELi2EfEEv20rocsparse_direction_20rocsparse_operation_iiNS_24const_host_device_scalarIT2_EEPKiS7_PKS4_iiS9_lS5_PS4_l21rocsparse_index_base_b, .Lfunc_end1-_ZN9rocsparseL33gebsrmm_large_blockdim_kernel_extILi16ELi16ELi2EfEEv20rocsparse_direction_20rocsparse_operation_iiNS_24const_host_device_scalarIT2_EEPKiS7_PKS4_iiS9_lS5_PS4_l21rocsparse_index_base_b
                                        ; -- End function
	.set _ZN9rocsparseL33gebsrmm_large_blockdim_kernel_extILi16ELi16ELi2EfEEv20rocsparse_direction_20rocsparse_operation_iiNS_24const_host_device_scalarIT2_EEPKiS7_PKS4_iiS9_lS5_PS4_l21rocsparse_index_base_b.num_vgpr, 23
	.set _ZN9rocsparseL33gebsrmm_large_blockdim_kernel_extILi16ELi16ELi2EfEEv20rocsparse_direction_20rocsparse_operation_iiNS_24const_host_device_scalarIT2_EEPKiS7_PKS4_iiS9_lS5_PS4_l21rocsparse_index_base_b.num_agpr, 0
	.set _ZN9rocsparseL33gebsrmm_large_blockdim_kernel_extILi16ELi16ELi2EfEEv20rocsparse_direction_20rocsparse_operation_iiNS_24const_host_device_scalarIT2_EEPKiS7_PKS4_iiS9_lS5_PS4_l21rocsparse_index_base_b.numbered_sgpr, 32
	.set _ZN9rocsparseL33gebsrmm_large_blockdim_kernel_extILi16ELi16ELi2EfEEv20rocsparse_direction_20rocsparse_operation_iiNS_24const_host_device_scalarIT2_EEPKiS7_PKS4_iiS9_lS5_PS4_l21rocsparse_index_base_b.num_named_barrier, 0
	.set _ZN9rocsparseL33gebsrmm_large_blockdim_kernel_extILi16ELi16ELi2EfEEv20rocsparse_direction_20rocsparse_operation_iiNS_24const_host_device_scalarIT2_EEPKiS7_PKS4_iiS9_lS5_PS4_l21rocsparse_index_base_b.private_seg_size, 0
	.set _ZN9rocsparseL33gebsrmm_large_blockdim_kernel_extILi16ELi16ELi2EfEEv20rocsparse_direction_20rocsparse_operation_iiNS_24const_host_device_scalarIT2_EEPKiS7_PKS4_iiS9_lS5_PS4_l21rocsparse_index_base_b.uses_vcc, 1
	.set _ZN9rocsparseL33gebsrmm_large_blockdim_kernel_extILi16ELi16ELi2EfEEv20rocsparse_direction_20rocsparse_operation_iiNS_24const_host_device_scalarIT2_EEPKiS7_PKS4_iiS9_lS5_PS4_l21rocsparse_index_base_b.uses_flat_scratch, 0
	.set _ZN9rocsparseL33gebsrmm_large_blockdim_kernel_extILi16ELi16ELi2EfEEv20rocsparse_direction_20rocsparse_operation_iiNS_24const_host_device_scalarIT2_EEPKiS7_PKS4_iiS9_lS5_PS4_l21rocsparse_index_base_b.has_dyn_sized_stack, 0
	.set _ZN9rocsparseL33gebsrmm_large_blockdim_kernel_extILi16ELi16ELi2EfEEv20rocsparse_direction_20rocsparse_operation_iiNS_24const_host_device_scalarIT2_EEPKiS7_PKS4_iiS9_lS5_PS4_l21rocsparse_index_base_b.has_recursion, 0
	.set _ZN9rocsparseL33gebsrmm_large_blockdim_kernel_extILi16ELi16ELi2EfEEv20rocsparse_direction_20rocsparse_operation_iiNS_24const_host_device_scalarIT2_EEPKiS7_PKS4_iiS9_lS5_PS4_l21rocsparse_index_base_b.has_indirect_call, 0
	.section	.AMDGPU.csdata,"",@progbits
; Kernel info:
; codeLenInByte = 1416
; TotalNumSgprs: 34
; NumVgprs: 23
; ScratchSize: 0
; MemoryBound: 0
; FloatMode: 240
; IeeeMode: 1
; LDSByteSize: 3072 bytes/workgroup (compile time only)
; SGPRBlocks: 0
; VGPRBlocks: 1
; NumSGPRsForWavesPerEU: 34
; NumVGPRsForWavesPerEU: 23
; NamedBarCnt: 0
; Occupancy: 16
; WaveLimiterHint : 1
; COMPUTE_PGM_RSRC2:SCRATCH_EN: 0
; COMPUTE_PGM_RSRC2:USER_SGPR: 2
; COMPUTE_PGM_RSRC2:TRAP_HANDLER: 0
; COMPUTE_PGM_RSRC2:TGID_X_EN: 1
; COMPUTE_PGM_RSRC2:TGID_Y_EN: 1
; COMPUTE_PGM_RSRC2:TGID_Z_EN: 0
; COMPUTE_PGM_RSRC2:TIDIG_COMP_CNT: 1
	.section	.text._ZN9rocsparseL33gebsrmm_large_blockdim_kernel_extILi32ELi32ELi2EfEEv20rocsparse_direction_20rocsparse_operation_iiNS_24const_host_device_scalarIT2_EEPKiS7_PKS4_iiS9_lS5_PS4_l21rocsparse_index_base_b,"axG",@progbits,_ZN9rocsparseL33gebsrmm_large_blockdim_kernel_extILi32ELi32ELi2EfEEv20rocsparse_direction_20rocsparse_operation_iiNS_24const_host_device_scalarIT2_EEPKiS7_PKS4_iiS9_lS5_PS4_l21rocsparse_index_base_b,comdat
	.globl	_ZN9rocsparseL33gebsrmm_large_blockdim_kernel_extILi32ELi32ELi2EfEEv20rocsparse_direction_20rocsparse_operation_iiNS_24const_host_device_scalarIT2_EEPKiS7_PKS4_iiS9_lS5_PS4_l21rocsparse_index_base_b ; -- Begin function _ZN9rocsparseL33gebsrmm_large_blockdim_kernel_extILi32ELi32ELi2EfEEv20rocsparse_direction_20rocsparse_operation_iiNS_24const_host_device_scalarIT2_EEPKiS7_PKS4_iiS9_lS5_PS4_l21rocsparse_index_base_b
	.p2align	8
	.type	_ZN9rocsparseL33gebsrmm_large_blockdim_kernel_extILi32ELi32ELi2EfEEv20rocsparse_direction_20rocsparse_operation_iiNS_24const_host_device_scalarIT2_EEPKiS7_PKS4_iiS9_lS5_PS4_l21rocsparse_index_base_b,@function
_ZN9rocsparseL33gebsrmm_large_blockdim_kernel_extILi32ELi32ELi2EfEEv20rocsparse_direction_20rocsparse_operation_iiNS_24const_host_device_scalarIT2_EEPKiS7_PKS4_iiS9_lS5_PS4_l21rocsparse_index_base_b: ; @_ZN9rocsparseL33gebsrmm_large_blockdim_kernel_extILi32ELi32ELi2EfEEv20rocsparse_direction_20rocsparse_operation_iiNS_24const_host_device_scalarIT2_EEPKiS7_PKS4_iiS9_lS5_PS4_l21rocsparse_index_base_b
; %bb.0:
	s_clause 0x2
	s_load_b64 s[20:21], s[0:1], 0x60
	s_load_b64 s[6:7], s[0:1], 0x10
	s_load_b128 s[8:11], s[0:1], 0x40
	s_wait_kmcnt 0x0
	s_bitcmp1_b32 s21, 0
	s_cselect_b32 s2, -1, 0
	s_delay_alu instid0(SALU_CYCLE_1)
	s_and_b32 vcc_lo, exec_lo, s2
	s_xor_b32 s2, s2, -1
	s_cbranch_vccnz .LBB2_2
; %bb.1:
	s_load_b32 s6, s[6:7], 0x0
.LBB2_2:
	s_and_not1_b32 vcc_lo, exec_lo, s2
	s_cbranch_vccnz .LBB2_4
; %bb.3:
	s_load_b32 s10, s[10:11], 0x0
.LBB2_4:
	s_wait_kmcnt 0x0
	s_cmp_eq_f32 s6, 0
	s_mov_b32 s24, 0
	s_cselect_b32 s2, -1, 0
	s_cmp_eq_f32 s10, 1.0
	s_cselect_b32 s3, -1, 0
	s_delay_alu instid0(SALU_CYCLE_1) | instskip(NEXT) | instid1(SALU_CYCLE_1)
	s_and_b32 s2, s2, s3
	s_and_b32 vcc_lo, exec_lo, s2
	s_cbranch_vccnz .LBB2_45
; %bb.5:
	s_load_b128 s[16:19], s[0:1], 0x0
	s_bfe_u32 s2, ttmp6, 0x4000c
	s_and_b32 s3, ttmp6, 15
	s_add_co_i32 s2, s2, 1
	s_mov_b32 s11, 0
	s_mul_i32 s4, ttmp9, s2
	s_getreg_b32 s2, hwreg(HW_REG_IB_STS2, 6, 4)
	s_add_co_i32 s3, s3, s4
	s_cmp_eq_u32 s2, 0
	s_cselect_b32 s22, ttmp9, s3
	s_wait_kmcnt 0x0
	s_cmp_lt_i32 s22, s18
	s_cselect_b32 s7, -1, 0
	s_cmp_ge_i32 s22, s18
	s_cbranch_scc1 .LBB2_7
; %bb.6:
	s_load_b64 s[4:5], s[0:1], 0x18
	s_ashr_i32 s23, s22, 31
	s_delay_alu instid0(SALU_CYCLE_1)
	s_lshl_b64 s[12:13], s[22:23], 2
	s_wait_kmcnt 0x0
	s_add_nc_u64 s[4:5], s[4:5], s[12:13]
	s_load_b64 s[12:13], s[4:5], 0x0
	s_wait_kmcnt 0x0
	s_sub_co_i32 s24, s12, s20
	s_sub_co_i32 s11, s13, s20
.LBB2_7:
	s_bfe_u32 s3, ttmp6, 0x40010
	s_load_b64 s[26:27], s[0:1], 0x30
	s_add_co_i32 s3, s3, 1
	s_bfe_u32 s4, ttmp6, 0x40004
	s_mul_i32 s3, ttmp7, s3
	v_bfe_u32 v1, v0, 10, 10
	s_add_co_i32 s4, s4, s3
	s_cmp_eq_u32 s2, 0
	v_and_b32_e32 v16, 0x3ff, v0
	s_cselect_b32 s2, ttmp7, s4
	s_cmp_ge_i32 s24, s11
	v_lshl_add_u32 v4, s2, 6, v1
	s_delay_alu instid0(VALU_DEP_1) | instskip(SKIP_3) | instid1(VALU_DEP_3)
	v_add_nc_u32_e32 v2, 32, v4
	v_cmp_gt_i32_e64 s3, s19, v4
	s_wait_kmcnt 0x0
	v_cmp_gt_i32_e64 s4, s26, v16
	v_cmp_gt_i32_e64 s2, s19, v2
	s_cbranch_scc1 .LBB2_35
; %bb.8:
	v_dual_ashrrev_i32 v5, 31, v4 :: v_dual_ashrrev_i32 v3, 31, v2
	v_cmp_gt_i32_e32 vcc_lo, s27, v1
	s_clause 0x1
	s_load_b128 s[12:15], s[0:1], 0x20
	s_load_b64 s[18:19], s[0:1], 0x38
	v_mad_u32 v0, s26, v1, v16
	v_mul_u64_e32 v[6:7], s[8:9], v[4:5]
	v_mul_u64_e32 v[8:9], s[8:9], v[2:3]
	v_mad_u32 v10, s27, v16, v1
	s_and_b32 s21, s4, vcc_lo
	s_cmp_lg_u32 s17, 0x6f
	v_lshl_or_b32 v11, v1, 2, 0x2000
	s_cselect_b32 s17, -1, 0
	s_cmp_eq_u32 s16, 0
	v_dual_lshlrev_b32 v17, 7, v1 :: v_dual_lshlrev_b32 v12, 7, v16
	s_cselect_b32 vcc_lo, -1, 0
	v_lshlrev_b32_e32 v13, 2, v16
	s_cmp_gt_i32 s27, 0
	s_delay_alu instid0(VALU_DEP_4)
	v_cndmask_b32_e32 v18, v0, v10, vcc_lo
	v_mov_b64_e32 v[0:1], 0
	v_cmp_gt_i32_e64 s5, s27, v16
	v_add_nc_u32_e32 v19, 0x2000, v12
	v_add_nc_u32_e32 v20, 0x1000, v17
	v_dual_add_nc_u32 v21, v13, v17 :: v_dual_add_nc_u32 v22, v11, v12
	s_cselect_b32 s25, -1, 0
	s_mul_i32 s16, s27, s26
	s_and_b32 s23, s3, s25
	s_and_b32 s28, s2, s25
	s_branch .LBB2_11
.LBB2_9:                                ;   in Loop: Header=BB2_11 Depth=1
	s_or_b32 exec_lo, exec_lo, s29
.LBB2_10:                               ;   in Loop: Header=BB2_11 Depth=1
	s_delay_alu instid0(SALU_CYCLE_1) | instskip(SKIP_1) | instid1(SALU_CYCLE_1)
	s_or_b32 exec_lo, exec_lo, s25
	s_add_co_i32 s24, s24, 1
	s_cmp_ge_i32 s24, s11
	s_barrier_signal -1
	s_barrier_wait -1
	s_cbranch_scc1 .LBB2_36
.LBB2_11:                               ; =>This Loop Header: Depth=1
                                        ;     Child Loop BB2_31 Depth 2
                                        ;     Child Loop BB2_34 Depth 2
	s_and_saveexec_b32 s29, s5
	s_cbranch_execz .LBB2_26
; %bb.12:                               ;   in Loop: Header=BB2_11 Depth=1
	s_ashr_i32 s25, s24, 31
	s_and_not1_b32 vcc_lo, exec_lo, s17
	s_lshl_b64 s[30:31], s[24:25], 2
	s_wait_kmcnt 0x0
	s_add_nc_u64 s[30:31], s[12:13], s[30:31]
	s_load_b32 s25, s[30:31], 0x0
	s_wait_kmcnt 0x0
	s_sub_co_i32 s25, s25, s20
	s_delay_alu instid0(SALU_CYCLE_1) | instskip(NEXT) | instid1(VALU_DEP_1)
	v_mad_u32 v10, s25, s27, v16
	v_ashrrev_i32_e32 v11, 31, v10
	s_cbranch_vccnz .LBB2_18
; %bb.13:                               ;   in Loop: Header=BB2_11 Depth=1
	s_delay_alu instid0(VALU_DEP_1) | instskip(NEXT) | instid1(VALU_DEP_1)
	v_mul_u64_e32 v[12:13], s[8:9], v[10:11]
	v_lshl_add_u64 v[14:15], v[12:13], 2, s[18:19]
	s_and_saveexec_b32 s25, s3
	s_cbranch_execz .LBB2_15
; %bb.14:                               ;   in Loop: Header=BB2_11 Depth=1
	s_delay_alu instid0(VALU_DEP_1)
	v_lshl_add_u64 v[12:13], v[4:5], 2, v[14:15]
	global_load_b32 v12, v[12:13], off
	s_wait_loadcnt 0x0
	ds_store_b32 v21, v12
.LBB2_15:                               ;   in Loop: Header=BB2_11 Depth=1
	s_or_b32 exec_lo, exec_lo, s25
	s_mov_b32 s30, 0
	s_mov_b32 s25, 0
                                        ; implicit-def: $vgpr12_vgpr13
	s_and_saveexec_b32 s31, s2
	s_delay_alu instid0(SALU_CYCLE_1)
	s_xor_b32 s31, exec_lo, s31
; %bb.16:                               ;   in Loop: Header=BB2_11 Depth=1
	v_lshl_add_u64 v[12:13], v[2:3], 2, v[14:15]
	s_mov_b32 s25, exec_lo
; %bb.17:                               ;   in Loop: Header=BB2_11 Depth=1
	s_or_b32 exec_lo, exec_lo, s31
	s_delay_alu instid0(SALU_CYCLE_1)
	s_and_b32 vcc_lo, exec_lo, s30
	s_cbranch_vccnz .LBB2_19
	s_branch .LBB2_24
.LBB2_18:                               ;   in Loop: Header=BB2_11 Depth=1
	s_mov_b32 s25, 0
                                        ; implicit-def: $vgpr12_vgpr13
	s_cbranch_execz .LBB2_24
.LBB2_19:                               ;   in Loop: Header=BB2_11 Depth=1
	s_delay_alu instid0(VALU_DEP_1)
	v_lshl_add_u64 v[10:11], v[10:11], 2, s[18:19]
	s_and_saveexec_b32 s30, s3
	s_cbranch_execz .LBB2_21
; %bb.20:                               ;   in Loop: Header=BB2_11 Depth=1
	s_delay_alu instid0(VALU_DEP_1)
	v_lshl_add_u64 v[12:13], v[6:7], 2, v[10:11]
	global_load_b32 v12, v[12:13], off
	s_wait_loadcnt 0x0
	ds_store_b32 v21, v12
.LBB2_21:                               ;   in Loop: Header=BB2_11 Depth=1
	s_or_b32 exec_lo, exec_lo, s30
                                        ; implicit-def: $vgpr12_vgpr13
	s_and_saveexec_b32 s30, s2
; %bb.22:                               ;   in Loop: Header=BB2_11 Depth=1
	v_lshl_add_u64 v[12:13], v[8:9], 2, v[10:11]
	s_or_b32 s25, s25, exec_lo
; %bb.23:                               ;   in Loop: Header=BB2_11 Depth=1
	s_or_b32 exec_lo, exec_lo, s30
.LBB2_24:                               ;   in Loop: Header=BB2_11 Depth=1
	s_delay_alu instid0(SALU_CYCLE_1)
	s_and_b32 exec_lo, exec_lo, s25
	s_cbranch_execz .LBB2_26
; %bb.25:                               ;   in Loop: Header=BB2_11 Depth=1
	global_load_b32 v10, v[12:13], off
	s_wait_loadcnt 0x0
	ds_store_b32 v21, v10 offset:4096
.LBB2_26:                               ;   in Loop: Header=BB2_11 Depth=1
	s_or_b32 exec_lo, exec_lo, s29
	s_and_saveexec_b32 s25, s21
	s_cbranch_execz .LBB2_28
; %bb.27:                               ;   in Loop: Header=BB2_11 Depth=1
	v_mad_u32 v10, s16, s24, v18
	s_wait_kmcnt 0x0
	global_load_b32 v10, v10, s[14:15] scale_offset
	s_wait_loadcnt 0x0
	ds_store_b32 v22, v10
.LBB2_28:                               ;   in Loop: Header=BB2_11 Depth=1
	s_or_b32 exec_lo, exec_lo, s25
	s_wait_dscnt 0x0
	s_barrier_signal -1
	s_barrier_wait -1
	s_and_saveexec_b32 s25, s4
	s_cbranch_execz .LBB2_10
; %bb.29:                               ;   in Loop: Header=BB2_11 Depth=1
	s_and_saveexec_b32 s29, s23
	s_cbranch_execz .LBB2_32
; %bb.30:                               ;   in Loop: Header=BB2_11 Depth=1
	v_dual_mov_b32 v10, v19 :: v_dual_mov_b32 v11, v17
	s_mov_b32 s30, s27
.LBB2_31:                               ;   Parent Loop BB2_11 Depth=1
                                        ; =>  This Inner Loop Header: Depth=2
	ds_load_b32 v12, v10
	ds_load_b32 v13, v11
	v_dual_add_nc_u32 v11, 4, v11 :: v_dual_add_nc_u32 v10, 4, v10
	s_add_co_i32 s30, s30, -1
	s_delay_alu instid0(SALU_CYCLE_1)
	s_cmp_lg_u32 s30, 0
	s_wait_dscnt 0x0
	v_fma_f32 v0, v12, v13, v0
	s_cbranch_scc1 .LBB2_31
.LBB2_32:                               ;   in Loop: Header=BB2_11 Depth=1
	s_or_b32 exec_lo, exec_lo, s29
	s_and_saveexec_b32 s29, s28
	s_cbranch_execz .LBB2_9
; %bb.33:                               ;   in Loop: Header=BB2_11 Depth=1
	v_dual_mov_b32 v10, v19 :: v_dual_mov_b32 v11, v20
	s_mov_b32 s30, s27
.LBB2_34:                               ;   Parent Loop BB2_11 Depth=1
                                        ; =>  This Inner Loop Header: Depth=2
	ds_load_b32 v12, v10
	ds_load_b32 v13, v11
	v_dual_add_nc_u32 v11, 4, v11 :: v_dual_add_nc_u32 v10, 4, v10
	s_add_co_i32 s30, s30, -1
	s_delay_alu instid0(SALU_CYCLE_1)
	s_cmp_lg_u32 s30, 0
	s_wait_dscnt 0x0
	v_fma_f32 v1, v12, v13, v1
	s_cbranch_scc1 .LBB2_34
	s_branch .LBB2_9
.LBB2_35:
	v_mov_b64_e32 v[0:1], 0
.LBB2_36:
	s_load_b64 s[8:9], s[0:1], 0x50
	s_and_b32 s4, s7, s4
	s_delay_alu instid0(SALU_CYCLE_1)
	s_and_saveexec_b32 s5, s4
	s_cbranch_execz .LBB2_45
; %bb.37:
	v_mad_u32 v6, s26, s22, v16
	s_wait_xcnt 0x0
	s_load_b64 s[0:1], s[0:1], 0x58
	s_cmp_neq_f32 s10, 0
	s_cselect_b32 s4, -1, 0
	s_delay_alu instid0(VALU_DEP_1) | instskip(SKIP_1) | instid1(VALU_DEP_1)
	v_ashrrev_i32_e32 v7, 31, v6
	s_wait_kmcnt 0x0
	v_lshl_add_u64 v[6:7], v[6:7], 2, s[8:9]
	s_and_saveexec_b32 s5, s3
	s_cbranch_execz .LBB2_41
; %bb.38:
	v_ashrrev_i32_e32 v5, 31, v4
	v_mul_f32_e32 v0, s6, v0
	s_and_b32 vcc_lo, exec_lo, s4
	s_cbranch_vccz .LBB2_46
; %bb.39:
	s_delay_alu instid0(VALU_DEP_2) | instskip(NEXT) | instid1(VALU_DEP_1)
	v_mul_u64_e32 v[8:9], s[0:1], v[4:5]
	v_lshl_add_u64 v[8:9], v[8:9], 2, v[6:7]
	global_load_b32 v3, v[8:9], off
	s_wait_loadcnt 0x0
	v_fma_f32 v3, s10, v3, v0
	global_store_b32 v[8:9], v3, off
	s_cbranch_execnz .LBB2_41
.LBB2_40:
	v_mul_u64_e32 v[4:5], s[0:1], v[4:5]
	s_delay_alu instid0(VALU_DEP_1)
	v_lshl_add_u64 v[4:5], v[4:5], 2, v[6:7]
	global_store_b32 v[4:5], v0, off
.LBB2_41:
	s_wait_xcnt 0x0
	s_or_b32 exec_lo, exec_lo, s5
	s_delay_alu instid0(SALU_CYCLE_1)
	s_and_b32 exec_lo, exec_lo, s2
	s_cbranch_execz .LBB2_45
; %bb.42:
	v_dual_mul_f32 v0, s6, v1 :: v_dual_ashrrev_i32 v3, 31, v2
	s_and_not1_b32 vcc_lo, exec_lo, s4
	s_cbranch_vccnz .LBB2_47
; %bb.43:
	s_delay_alu instid0(VALU_DEP_1) | instskip(NEXT) | instid1(VALU_DEP_1)
	v_mul_u64_e32 v[4:5], s[0:1], v[2:3]
	v_lshl_add_u64 v[4:5], v[4:5], 2, v[6:7]
	global_load_b32 v1, v[4:5], off
	s_wait_loadcnt 0x0
	v_fma_f32 v1, s10, v1, v0
	global_store_b32 v[4:5], v1, off
	s_cbranch_execnz .LBB2_45
.LBB2_44:
	s_delay_alu instid0(VALU_DEP_1) | instskip(NEXT) | instid1(VALU_DEP_1)
	v_mul_u64_e32 v[2:3], s[0:1], v[2:3]
	v_lshl_add_u64 v[2:3], v[2:3], 2, v[6:7]
	global_store_b32 v[2:3], v0, off
.LBB2_45:
	s_endpgm
.LBB2_46:
	s_branch .LBB2_40
.LBB2_47:
	s_branch .LBB2_44
	.section	.rodata,"a",@progbits
	.p2align	6, 0x0
	.amdhsa_kernel _ZN9rocsparseL33gebsrmm_large_blockdim_kernel_extILi32ELi32ELi2EfEEv20rocsparse_direction_20rocsparse_operation_iiNS_24const_host_device_scalarIT2_EEPKiS7_PKS4_iiS9_lS5_PS4_l21rocsparse_index_base_b
		.amdhsa_group_segment_fixed_size 12288
		.amdhsa_private_segment_fixed_size 0
		.amdhsa_kernarg_size 104
		.amdhsa_user_sgpr_count 2
		.amdhsa_user_sgpr_dispatch_ptr 0
		.amdhsa_user_sgpr_queue_ptr 0
		.amdhsa_user_sgpr_kernarg_segment_ptr 1
		.amdhsa_user_sgpr_dispatch_id 0
		.amdhsa_user_sgpr_kernarg_preload_length 0
		.amdhsa_user_sgpr_kernarg_preload_offset 0
		.amdhsa_user_sgpr_private_segment_size 0
		.amdhsa_wavefront_size32 1
		.amdhsa_uses_dynamic_stack 0
		.amdhsa_enable_private_segment 0
		.amdhsa_system_sgpr_workgroup_id_x 1
		.amdhsa_system_sgpr_workgroup_id_y 1
		.amdhsa_system_sgpr_workgroup_id_z 0
		.amdhsa_system_sgpr_workgroup_info 0
		.amdhsa_system_vgpr_workitem_id 1
		.amdhsa_next_free_vgpr 23
		.amdhsa_next_free_sgpr 32
		.amdhsa_named_barrier_count 0
		.amdhsa_reserve_vcc 1
		.amdhsa_float_round_mode_32 0
		.amdhsa_float_round_mode_16_64 0
		.amdhsa_float_denorm_mode_32 3
		.amdhsa_float_denorm_mode_16_64 3
		.amdhsa_fp16_overflow 0
		.amdhsa_memory_ordered 1
		.amdhsa_forward_progress 1
		.amdhsa_inst_pref_size 12
		.amdhsa_round_robin_scheduling 0
		.amdhsa_exception_fp_ieee_invalid_op 0
		.amdhsa_exception_fp_denorm_src 0
		.amdhsa_exception_fp_ieee_div_zero 0
		.amdhsa_exception_fp_ieee_overflow 0
		.amdhsa_exception_fp_ieee_underflow 0
		.amdhsa_exception_fp_ieee_inexact 0
		.amdhsa_exception_int_div_zero 0
	.end_amdhsa_kernel
	.section	.text._ZN9rocsparseL33gebsrmm_large_blockdim_kernel_extILi32ELi32ELi2EfEEv20rocsparse_direction_20rocsparse_operation_iiNS_24const_host_device_scalarIT2_EEPKiS7_PKS4_iiS9_lS5_PS4_l21rocsparse_index_base_b,"axG",@progbits,_ZN9rocsparseL33gebsrmm_large_blockdim_kernel_extILi32ELi32ELi2EfEEv20rocsparse_direction_20rocsparse_operation_iiNS_24const_host_device_scalarIT2_EEPKiS7_PKS4_iiS9_lS5_PS4_l21rocsparse_index_base_b,comdat
.Lfunc_end2:
	.size	_ZN9rocsparseL33gebsrmm_large_blockdim_kernel_extILi32ELi32ELi2EfEEv20rocsparse_direction_20rocsparse_operation_iiNS_24const_host_device_scalarIT2_EEPKiS7_PKS4_iiS9_lS5_PS4_l21rocsparse_index_base_b, .Lfunc_end2-_ZN9rocsparseL33gebsrmm_large_blockdim_kernel_extILi32ELi32ELi2EfEEv20rocsparse_direction_20rocsparse_operation_iiNS_24const_host_device_scalarIT2_EEPKiS7_PKS4_iiS9_lS5_PS4_l21rocsparse_index_base_b
                                        ; -- End function
	.set _ZN9rocsparseL33gebsrmm_large_blockdim_kernel_extILi32ELi32ELi2EfEEv20rocsparse_direction_20rocsparse_operation_iiNS_24const_host_device_scalarIT2_EEPKiS7_PKS4_iiS9_lS5_PS4_l21rocsparse_index_base_b.num_vgpr, 23
	.set _ZN9rocsparseL33gebsrmm_large_blockdim_kernel_extILi32ELi32ELi2EfEEv20rocsparse_direction_20rocsparse_operation_iiNS_24const_host_device_scalarIT2_EEPKiS7_PKS4_iiS9_lS5_PS4_l21rocsparse_index_base_b.num_agpr, 0
	.set _ZN9rocsparseL33gebsrmm_large_blockdim_kernel_extILi32ELi32ELi2EfEEv20rocsparse_direction_20rocsparse_operation_iiNS_24const_host_device_scalarIT2_EEPKiS7_PKS4_iiS9_lS5_PS4_l21rocsparse_index_base_b.numbered_sgpr, 32
	.set _ZN9rocsparseL33gebsrmm_large_blockdim_kernel_extILi32ELi32ELi2EfEEv20rocsparse_direction_20rocsparse_operation_iiNS_24const_host_device_scalarIT2_EEPKiS7_PKS4_iiS9_lS5_PS4_l21rocsparse_index_base_b.num_named_barrier, 0
	.set _ZN9rocsparseL33gebsrmm_large_blockdim_kernel_extILi32ELi32ELi2EfEEv20rocsparse_direction_20rocsparse_operation_iiNS_24const_host_device_scalarIT2_EEPKiS7_PKS4_iiS9_lS5_PS4_l21rocsparse_index_base_b.private_seg_size, 0
	.set _ZN9rocsparseL33gebsrmm_large_blockdim_kernel_extILi32ELi32ELi2EfEEv20rocsparse_direction_20rocsparse_operation_iiNS_24const_host_device_scalarIT2_EEPKiS7_PKS4_iiS9_lS5_PS4_l21rocsparse_index_base_b.uses_vcc, 1
	.set _ZN9rocsparseL33gebsrmm_large_blockdim_kernel_extILi32ELi32ELi2EfEEv20rocsparse_direction_20rocsparse_operation_iiNS_24const_host_device_scalarIT2_EEPKiS7_PKS4_iiS9_lS5_PS4_l21rocsparse_index_base_b.uses_flat_scratch, 0
	.set _ZN9rocsparseL33gebsrmm_large_blockdim_kernel_extILi32ELi32ELi2EfEEv20rocsparse_direction_20rocsparse_operation_iiNS_24const_host_device_scalarIT2_EEPKiS7_PKS4_iiS9_lS5_PS4_l21rocsparse_index_base_b.has_dyn_sized_stack, 0
	.set _ZN9rocsparseL33gebsrmm_large_blockdim_kernel_extILi32ELi32ELi2EfEEv20rocsparse_direction_20rocsparse_operation_iiNS_24const_host_device_scalarIT2_EEPKiS7_PKS4_iiS9_lS5_PS4_l21rocsparse_index_base_b.has_recursion, 0
	.set _ZN9rocsparseL33gebsrmm_large_blockdim_kernel_extILi32ELi32ELi2EfEEv20rocsparse_direction_20rocsparse_operation_iiNS_24const_host_device_scalarIT2_EEPKiS7_PKS4_iiS9_lS5_PS4_l21rocsparse_index_base_b.has_indirect_call, 0
	.section	.AMDGPU.csdata,"",@progbits
; Kernel info:
; codeLenInByte = 1416
; TotalNumSgprs: 34
; NumVgprs: 23
; ScratchSize: 0
; MemoryBound: 0
; FloatMode: 240
; IeeeMode: 1
; LDSByteSize: 12288 bytes/workgroup (compile time only)
; SGPRBlocks: 0
; VGPRBlocks: 1
; NumSGPRsForWavesPerEU: 34
; NumVGPRsForWavesPerEU: 23
; NamedBarCnt: 0
; Occupancy: 16
; WaveLimiterHint : 1
; COMPUTE_PGM_RSRC2:SCRATCH_EN: 0
; COMPUTE_PGM_RSRC2:USER_SGPR: 2
; COMPUTE_PGM_RSRC2:TRAP_HANDLER: 0
; COMPUTE_PGM_RSRC2:TGID_X_EN: 1
; COMPUTE_PGM_RSRC2:TGID_Y_EN: 1
; COMPUTE_PGM_RSRC2:TGID_Z_EN: 0
; COMPUTE_PGM_RSRC2:TIDIG_COMP_CNT: 1
	.section	.text._ZN9rocsparseL33gebsrmm_large_blockdim_kernel_extILi8ELi8ELi2EdEEv20rocsparse_direction_20rocsparse_operation_iiNS_24const_host_device_scalarIT2_EEPKiS7_PKS4_iiS9_lS5_PS4_l21rocsparse_index_base_b,"axG",@progbits,_ZN9rocsparseL33gebsrmm_large_blockdim_kernel_extILi8ELi8ELi2EdEEv20rocsparse_direction_20rocsparse_operation_iiNS_24const_host_device_scalarIT2_EEPKiS7_PKS4_iiS9_lS5_PS4_l21rocsparse_index_base_b,comdat
	.globl	_ZN9rocsparseL33gebsrmm_large_blockdim_kernel_extILi8ELi8ELi2EdEEv20rocsparse_direction_20rocsparse_operation_iiNS_24const_host_device_scalarIT2_EEPKiS7_PKS4_iiS9_lS5_PS4_l21rocsparse_index_base_b ; -- Begin function _ZN9rocsparseL33gebsrmm_large_blockdim_kernel_extILi8ELi8ELi2EdEEv20rocsparse_direction_20rocsparse_operation_iiNS_24const_host_device_scalarIT2_EEPKiS7_PKS4_iiS9_lS5_PS4_l21rocsparse_index_base_b
	.p2align	8
	.type	_ZN9rocsparseL33gebsrmm_large_blockdim_kernel_extILi8ELi8ELi2EdEEv20rocsparse_direction_20rocsparse_operation_iiNS_24const_host_device_scalarIT2_EEPKiS7_PKS4_iiS9_lS5_PS4_l21rocsparse_index_base_b,@function
_ZN9rocsparseL33gebsrmm_large_blockdim_kernel_extILi8ELi8ELi2EdEEv20rocsparse_direction_20rocsparse_operation_iiNS_24const_host_device_scalarIT2_EEPKiS7_PKS4_iiS9_lS5_PS4_l21rocsparse_index_base_b: ; @_ZN9rocsparseL33gebsrmm_large_blockdim_kernel_extILi8ELi8ELi2EdEEv20rocsparse_direction_20rocsparse_operation_iiNS_24const_host_device_scalarIT2_EEPKiS7_PKS4_iiS9_lS5_PS4_l21rocsparse_index_base_b
; %bb.0:
	s_clause 0x2
	s_load_b64 s[6:7], s[0:1], 0x60
	s_load_b64 s[2:3], s[0:1], 0x10
	s_load_b128 s[8:11], s[0:1], 0x40
	s_wait_kmcnt 0x0
	s_bitcmp1_b32 s7, 0
	v_mov_b64_e32 v[4:5], s[2:3]
	s_cselect_b32 s4, -1, 0
	s_delay_alu instid0(SALU_CYCLE_1)
	s_and_b32 vcc_lo, exec_lo, s4
	s_xor_b32 s4, s4, -1
	s_cbranch_vccnz .LBB3_2
; %bb.1:
	v_mov_b32_e32 v1, 0
	flat_load_b64 v[4:5], v1, s[2:3]
.LBB3_2:
	v_mov_b64_e32 v[6:7], s[10:11]
	s_and_not1_b32 vcc_lo, exec_lo, s4
	s_cbranch_vccnz .LBB3_4
; %bb.3:
	s_wait_xcnt 0x0
	v_mov_b32_e32 v1, 0
	flat_load_b64 v[6:7], v1, s[10:11]
.LBB3_4:
	s_wait_loadcnt_dscnt 0x0
	v_cmp_neq_f64_e32 vcc_lo, 0, v[4:5]
	s_delay_alu instid0(VALU_DEP_2) | instskip(SKIP_1) | instid1(SALU_CYCLE_1)
	v_cmp_neq_f64_e64 s2, 1.0, v[6:7]
	s_or_b32 s2, vcc_lo, s2
	s_and_saveexec_b32 s3, s2
	s_cbranch_execz .LBB3_47
; %bb.5:
	s_load_b128 s[16:19], s[0:1], 0x0
	s_bfe_u32 s2, ttmp6, 0x4000c
	s_and_b32 s3, ttmp6, 15
	s_add_co_i32 s2, s2, 1
	s_mov_b32 s22, 0
	s_mul_i32 s4, ttmp9, s2
	s_getreg_b32 s2, hwreg(HW_REG_IB_STS2, 6, 4)
	s_add_co_i32 s3, s3, s4
	s_cmp_eq_u32 s2, 0
	s_mov_b32 s7, 0
	s_cselect_b32 s10, ttmp9, s3
	s_wait_kmcnt 0x0
	s_cmp_lt_i32 s10, s18
	s_cselect_b32 s24, -1, 0
	s_cmp_ge_i32 s10, s18
	s_cbranch_scc1 .LBB3_7
; %bb.6:
	s_load_b64 s[4:5], s[0:1], 0x18
	s_ashr_i32 s11, s10, 31
	s_delay_alu instid0(SALU_CYCLE_1)
	s_lshl_b64 s[12:13], s[10:11], 2
	s_wait_kmcnt 0x0
	s_add_nc_u64 s[4:5], s[4:5], s[12:13]
	s_load_b64 s[12:13], s[4:5], 0x0
	s_wait_kmcnt 0x0
	s_sub_co_i32 s22, s12, s6
	s_sub_co_i32 s7, s13, s6
.LBB3_7:
	s_bfe_u32 s3, ttmp6, 0x40010
	s_load_b64 s[20:21], s[0:1], 0x30
	s_add_co_i32 s3, s3, 1
	s_bfe_u32 s4, ttmp6, 0x40004
	s_mul_i32 s3, ttmp7, s3
	v_bfe_u32 v1, v0, 10, 10
	s_add_co_i32 s4, s4, s3
	s_cmp_eq_u32 s2, 0
	v_and_b32_e32 v22, 0x3ff, v0
	s_cselect_b32 s2, ttmp7, s4
	s_cmp_ge_i32 s22, s7
	v_lshl_add_u32 v10, s2, 4, v1
	s_delay_alu instid0(VALU_DEP_1) | instskip(SKIP_3) | instid1(VALU_DEP_3)
	v_add_nc_u32_e32 v8, 8, v10
	v_cmp_gt_i32_e64 s3, s19, v10
	s_wait_kmcnt 0x0
	v_cmp_gt_i32_e64 s4, s20, v22
	v_cmp_gt_i32_e64 s2, s19, v8
	s_cbranch_scc1 .LBB3_35
; %bb.8:
	v_dual_ashrrev_i32 v11, 31, v10 :: v_dual_ashrrev_i32 v9, 31, v8
	s_clause 0x1
	s_load_b128 s[12:15], s[0:1], 0x20
	s_load_b64 s[18:19], s[0:1], 0x38
	v_cmp_gt_i32_e32 vcc_lo, s21, v1
	v_mad_u32 v2, s20, v1, v22
	v_mul_u64_e32 v[12:13], s[8:9], v[10:11]
	v_mul_u64_e32 v[14:15], s[8:9], v[8:9]
	v_mad_u32 v3, s21, v22, v1
	s_and_b32 s11, s4, vcc_lo
	s_cmp_lg_u32 s17, 0x6f
	v_lshl_add_u32 v16, v1, 3, 0x400
	v_dual_lshlrev_b32 v17, 3, v22 :: v_dual_lshlrev_b32 v23, 6, v1
	v_dual_lshlrev_b32 v18, 6, v22 :: v_dual_mov_b32 v0, 0
	s_cselect_b32 s17, -1, 0
	s_cmp_eq_u32 s16, 0
	v_cmp_gt_i32_e64 s5, s21, v22
	s_cselect_b32 vcc_lo, -1, 0
	s_cmp_gt_i32 s21, 0
	v_dual_cndmask_b32 v24, v2, v3 :: v_dual_add_nc_u32 v25, 0x400, v18
	v_dual_mov_b32 v1, v0 :: v_dual_add_nc_u32 v26, 0x200, v23
	v_dual_mov_b32 v2, v0 :: v_dual_mov_b32 v3, v0
	v_dual_add_nc_u32 v27, v17, v23 :: v_dual_add_nc_u32 v28, v16, v18
	s_cselect_b32 s23, -1, 0
	s_mul_i32 s16, s21, s20
	s_and_b32 s25, s3, s23
	s_and_b32 s26, s2, s23
	s_branch .LBB3_11
.LBB3_9:                                ;   in Loop: Header=BB3_11 Depth=1
	s_or_b32 exec_lo, exec_lo, s27
.LBB3_10:                               ;   in Loop: Header=BB3_11 Depth=1
	s_delay_alu instid0(SALU_CYCLE_1) | instskip(SKIP_1) | instid1(SALU_CYCLE_1)
	s_or_b32 exec_lo, exec_lo, s23
	s_add_co_i32 s22, s22, 1
	s_cmp_ge_i32 s22, s7
	s_barrier_signal -1
	s_barrier_wait -1
	s_cbranch_scc1 .LBB3_36
.LBB3_11:                               ; =>This Loop Header: Depth=1
                                        ;     Child Loop BB3_31 Depth 2
                                        ;     Child Loop BB3_34 Depth 2
	s_and_saveexec_b32 s27, s5
	s_cbranch_execz .LBB3_26
; %bb.12:                               ;   in Loop: Header=BB3_11 Depth=1
	s_ashr_i32 s23, s22, 31
	s_and_not1_b32 vcc_lo, exec_lo, s17
	s_lshl_b64 s[28:29], s[22:23], 2
	s_wait_kmcnt 0x0
	s_add_nc_u64 s[28:29], s[12:13], s[28:29]
	s_load_b32 s23, s[28:29], 0x0
	s_wait_kmcnt 0x0
	s_sub_co_i32 s23, s23, s6
	s_delay_alu instid0(SALU_CYCLE_1) | instskip(NEXT) | instid1(VALU_DEP_1)
	v_mad_u32 v16, s23, s21, v22
	v_ashrrev_i32_e32 v17, 31, v16
	s_cbranch_vccnz .LBB3_18
; %bb.13:                               ;   in Loop: Header=BB3_11 Depth=1
	s_delay_alu instid0(VALU_DEP_1) | instskip(NEXT) | instid1(VALU_DEP_1)
	v_mul_u64_e32 v[18:19], s[8:9], v[16:17]
	v_lshl_add_u64 v[20:21], v[18:19], 3, s[18:19]
	s_and_saveexec_b32 s23, s3
	s_cbranch_execz .LBB3_15
; %bb.14:                               ;   in Loop: Header=BB3_11 Depth=1
	s_delay_alu instid0(VALU_DEP_1)
	v_lshl_add_u64 v[18:19], v[10:11], 3, v[20:21]
	global_load_b64 v[18:19], v[18:19], off
	s_wait_loadcnt 0x0
	ds_store_b64 v27, v[18:19]
.LBB3_15:                               ;   in Loop: Header=BB3_11 Depth=1
	s_or_b32 exec_lo, exec_lo, s23
	s_mov_b32 s28, 0
	s_mov_b32 s23, 0
                                        ; implicit-def: $vgpr18_vgpr19
	s_and_saveexec_b32 s29, s2
	s_delay_alu instid0(SALU_CYCLE_1)
	s_xor_b32 s29, exec_lo, s29
; %bb.16:                               ;   in Loop: Header=BB3_11 Depth=1
	v_lshl_add_u64 v[18:19], v[8:9], 3, v[20:21]
	s_mov_b32 s23, exec_lo
; %bb.17:                               ;   in Loop: Header=BB3_11 Depth=1
	s_or_b32 exec_lo, exec_lo, s29
	s_delay_alu instid0(SALU_CYCLE_1)
	s_and_b32 vcc_lo, exec_lo, s28
	s_cbranch_vccnz .LBB3_19
	s_branch .LBB3_24
.LBB3_18:                               ;   in Loop: Header=BB3_11 Depth=1
	s_mov_b32 s23, 0
                                        ; implicit-def: $vgpr18_vgpr19
	s_cbranch_execz .LBB3_24
.LBB3_19:                               ;   in Loop: Header=BB3_11 Depth=1
	s_delay_alu instid0(VALU_DEP_1)
	v_lshl_add_u64 v[16:17], v[16:17], 3, s[18:19]
	s_and_saveexec_b32 s28, s3
	s_cbranch_execz .LBB3_21
; %bb.20:                               ;   in Loop: Header=BB3_11 Depth=1
	s_delay_alu instid0(VALU_DEP_1)
	v_lshl_add_u64 v[18:19], v[12:13], 3, v[16:17]
	global_load_b64 v[18:19], v[18:19], off
	s_wait_loadcnt 0x0
	ds_store_b64 v27, v[18:19]
.LBB3_21:                               ;   in Loop: Header=BB3_11 Depth=1
	s_or_b32 exec_lo, exec_lo, s28
                                        ; implicit-def: $vgpr18_vgpr19
	s_and_saveexec_b32 s28, s2
; %bb.22:                               ;   in Loop: Header=BB3_11 Depth=1
	v_lshl_add_u64 v[18:19], v[14:15], 3, v[16:17]
	s_or_b32 s23, s23, exec_lo
; %bb.23:                               ;   in Loop: Header=BB3_11 Depth=1
	s_or_b32 exec_lo, exec_lo, s28
.LBB3_24:                               ;   in Loop: Header=BB3_11 Depth=1
	s_delay_alu instid0(SALU_CYCLE_1)
	s_and_b32 exec_lo, exec_lo, s23
	s_cbranch_execz .LBB3_26
; %bb.25:                               ;   in Loop: Header=BB3_11 Depth=1
	global_load_b64 v[16:17], v[18:19], off
	s_wait_loadcnt 0x0
	ds_store_b64 v27, v[16:17] offset:512
.LBB3_26:                               ;   in Loop: Header=BB3_11 Depth=1
	s_or_b32 exec_lo, exec_lo, s27
	s_and_saveexec_b32 s23, s11
	s_cbranch_execz .LBB3_28
; %bb.27:                               ;   in Loop: Header=BB3_11 Depth=1
	v_mad_u32 v16, s16, s22, v24
	s_wait_kmcnt 0x0
	global_load_b64 v[16:17], v16, s[14:15] scale_offset
	s_wait_loadcnt 0x0
	ds_store_b64 v28, v[16:17]
.LBB3_28:                               ;   in Loop: Header=BB3_11 Depth=1
	s_or_b32 exec_lo, exec_lo, s23
	s_wait_dscnt 0x0
	s_barrier_signal -1
	s_barrier_wait -1
	s_and_saveexec_b32 s23, s4
	s_cbranch_execz .LBB3_10
; %bb.29:                               ;   in Loop: Header=BB3_11 Depth=1
	s_and_saveexec_b32 s27, s25
	s_cbranch_execz .LBB3_32
; %bb.30:                               ;   in Loop: Header=BB3_11 Depth=1
	v_dual_mov_b32 v16, v25 :: v_dual_mov_b32 v17, v23
	s_mov_b32 s28, s21
.LBB3_31:                               ;   Parent Loop BB3_11 Depth=1
                                        ; =>  This Inner Loop Header: Depth=2
	ds_load_b64 v[18:19], v16
	ds_load_b64 v[20:21], v17
	v_dual_add_nc_u32 v17, 8, v17 :: v_dual_add_nc_u32 v16, 8, v16
	s_add_co_i32 s28, s28, -1
	s_delay_alu instid0(SALU_CYCLE_1)
	s_cmp_lg_u32 s28, 0
	s_wait_dscnt 0x0
	v_fmac_f64_e32 v[0:1], v[18:19], v[20:21]
	s_cbranch_scc1 .LBB3_31
.LBB3_32:                               ;   in Loop: Header=BB3_11 Depth=1
	s_or_b32 exec_lo, exec_lo, s27
	s_and_saveexec_b32 s27, s26
	s_cbranch_execz .LBB3_9
; %bb.33:                               ;   in Loop: Header=BB3_11 Depth=1
	v_dual_mov_b32 v16, v25 :: v_dual_mov_b32 v17, v26
	s_mov_b32 s28, s21
.LBB3_34:                               ;   Parent Loop BB3_11 Depth=1
                                        ; =>  This Inner Loop Header: Depth=2
	ds_load_b64 v[18:19], v16
	ds_load_b64 v[20:21], v17
	v_dual_add_nc_u32 v17, 8, v17 :: v_dual_add_nc_u32 v16, 8, v16
	s_add_co_i32 s28, s28, -1
	s_delay_alu instid0(SALU_CYCLE_1)
	s_cmp_lg_u32 s28, 0
	s_wait_dscnt 0x0
	v_fmac_f64_e32 v[2:3], v[18:19], v[20:21]
	s_cbranch_scc1 .LBB3_34
	s_branch .LBB3_9
.LBB3_35:
	v_mov_b32_e32 v0, 0
	s_delay_alu instid0(VALU_DEP_1)
	v_dual_mov_b32 v1, v0 :: v_dual_mov_b32 v2, v0
	v_mov_b32_e32 v3, v0
.LBB3_36:
	s_load_b64 s[6:7], s[0:1], 0x50
	s_and_b32 s4, s24, s4
	s_delay_alu instid0(SALU_CYCLE_1)
	s_and_b32 exec_lo, exec_lo, s4
	s_cbranch_execz .LBB3_47
; %bb.37:
	v_mad_u32 v12, s20, s10, v22
	s_wait_xcnt 0x0
	s_load_b64 s[0:1], s[0:1], 0x58
	v_cmp_neq_f64_e32 vcc_lo, 0, v[6:7]
	s_delay_alu instid0(VALU_DEP_2) | instskip(SKIP_1) | instid1(VALU_DEP_1)
	v_ashrrev_i32_e32 v13, 31, v12
	s_wait_kmcnt 0x0
	v_lshl_add_u64 v[12:13], v[12:13], 3, s[6:7]
	s_and_saveexec_b32 s4, s3
	s_cbranch_execz .LBB3_42
; %bb.38:
	v_ashrrev_i32_e32 v11, 31, v10
	s_and_saveexec_b32 s3, vcc_lo
	s_delay_alu instid0(SALU_CYCLE_1)
	s_xor_b32 s3, exec_lo, s3
	s_cbranch_execz .LBB3_40
; %bb.39:
	s_delay_alu instid0(VALU_DEP_1) | instskip(SKIP_1) | instid1(VALU_DEP_2)
	v_mul_u64_e32 v[10:11], s[0:1], v[10:11]
	v_mul_f64_e32 v[16:17], v[4:5], v[0:1]
	v_lshl_add_u64 v[10:11], v[10:11], 3, v[12:13]
	global_load_b64 v[14:15], v[10:11], off
	s_wait_loadcnt 0x0
	v_fmac_f64_e32 v[16:17], v[6:7], v[14:15]
	global_store_b64 v[10:11], v[16:17], off
                                        ; implicit-def: $vgpr10
.LBB3_40:
	s_wait_xcnt 0x0
	s_and_not1_saveexec_b32 s3, s3
	s_cbranch_execz .LBB3_42
; %bb.41:
	v_mul_u64_e32 v[10:11], s[0:1], v[10:11]
	v_mul_f64_e32 v[0:1], v[4:5], v[0:1]
	s_delay_alu instid0(VALU_DEP_2)
	v_lshl_add_u64 v[10:11], v[10:11], 3, v[12:13]
	global_store_b64 v[10:11], v[0:1], off
.LBB3_42:
	s_wait_xcnt 0x0
	s_or_b32 exec_lo, exec_lo, s4
	s_delay_alu instid0(SALU_CYCLE_1)
	s_and_b32 exec_lo, exec_lo, s2
	s_cbranch_execz .LBB3_47
; %bb.43:
	v_ashrrev_i32_e32 v9, 31, v8
	s_and_saveexec_b32 s2, vcc_lo
	s_delay_alu instid0(SALU_CYCLE_1)
	s_xor_b32 s2, exec_lo, s2
	s_cbranch_execz .LBB3_45
; %bb.44:
	s_delay_alu instid0(VALU_DEP_1) | instskip(SKIP_1) | instid1(VALU_DEP_2)
	v_mul_u64_e32 v[0:1], s[0:1], v[8:9]
	v_mul_f64_e32 v[2:3], v[4:5], v[2:3]
                                        ; implicit-def: $vgpr4_vgpr5
	v_lshl_add_u64 v[0:1], v[0:1], 3, v[12:13]
                                        ; implicit-def: $vgpr12_vgpr13
	global_load_b64 v[8:9], v[0:1], off
	s_wait_loadcnt 0x0
	v_fmac_f64_e32 v[2:3], v[6:7], v[8:9]
                                        ; implicit-def: $vgpr8
	global_store_b64 v[0:1], v[2:3], off
                                        ; implicit-def: $vgpr0_vgpr1_vgpr2_vgpr3
.LBB3_45:
	s_wait_xcnt 0x0
	s_and_not1_saveexec_b32 s2, s2
	s_cbranch_execz .LBB3_47
; %bb.46:
	v_mul_u64_e32 v[0:1], s[0:1], v[8:9]
	v_mul_f64_e32 v[2:3], v[4:5], v[2:3]
	s_delay_alu instid0(VALU_DEP_2)
	v_lshl_add_u64 v[0:1], v[0:1], 3, v[12:13]
	global_store_b64 v[0:1], v[2:3], off
.LBB3_47:
	s_endpgm
	.section	.rodata,"a",@progbits
	.p2align	6, 0x0
	.amdhsa_kernel _ZN9rocsparseL33gebsrmm_large_blockdim_kernel_extILi8ELi8ELi2EdEEv20rocsparse_direction_20rocsparse_operation_iiNS_24const_host_device_scalarIT2_EEPKiS7_PKS4_iiS9_lS5_PS4_l21rocsparse_index_base_b
		.amdhsa_group_segment_fixed_size 1536
		.amdhsa_private_segment_fixed_size 0
		.amdhsa_kernarg_size 104
		.amdhsa_user_sgpr_count 2
		.amdhsa_user_sgpr_dispatch_ptr 0
		.amdhsa_user_sgpr_queue_ptr 0
		.amdhsa_user_sgpr_kernarg_segment_ptr 1
		.amdhsa_user_sgpr_dispatch_id 0
		.amdhsa_user_sgpr_kernarg_preload_length 0
		.amdhsa_user_sgpr_kernarg_preload_offset 0
		.amdhsa_user_sgpr_private_segment_size 0
		.amdhsa_wavefront_size32 1
		.amdhsa_uses_dynamic_stack 0
		.amdhsa_enable_private_segment 0
		.amdhsa_system_sgpr_workgroup_id_x 1
		.amdhsa_system_sgpr_workgroup_id_y 1
		.amdhsa_system_sgpr_workgroup_id_z 0
		.amdhsa_system_sgpr_workgroup_info 0
		.amdhsa_system_vgpr_workitem_id 1
		.amdhsa_next_free_vgpr 29
		.amdhsa_next_free_sgpr 30
		.amdhsa_named_barrier_count 0
		.amdhsa_reserve_vcc 1
		.amdhsa_float_round_mode_32 0
		.amdhsa_float_round_mode_16_64 0
		.amdhsa_float_denorm_mode_32 3
		.amdhsa_float_denorm_mode_16_64 3
		.amdhsa_fp16_overflow 0
		.amdhsa_memory_ordered 1
		.amdhsa_forward_progress 1
		.amdhsa_inst_pref_size 12
		.amdhsa_round_robin_scheduling 0
		.amdhsa_exception_fp_ieee_invalid_op 0
		.amdhsa_exception_fp_denorm_src 0
		.amdhsa_exception_fp_ieee_div_zero 0
		.amdhsa_exception_fp_ieee_overflow 0
		.amdhsa_exception_fp_ieee_underflow 0
		.amdhsa_exception_fp_ieee_inexact 0
		.amdhsa_exception_int_div_zero 0
	.end_amdhsa_kernel
	.section	.text._ZN9rocsparseL33gebsrmm_large_blockdim_kernel_extILi8ELi8ELi2EdEEv20rocsparse_direction_20rocsparse_operation_iiNS_24const_host_device_scalarIT2_EEPKiS7_PKS4_iiS9_lS5_PS4_l21rocsparse_index_base_b,"axG",@progbits,_ZN9rocsparseL33gebsrmm_large_blockdim_kernel_extILi8ELi8ELi2EdEEv20rocsparse_direction_20rocsparse_operation_iiNS_24const_host_device_scalarIT2_EEPKiS7_PKS4_iiS9_lS5_PS4_l21rocsparse_index_base_b,comdat
.Lfunc_end3:
	.size	_ZN9rocsparseL33gebsrmm_large_blockdim_kernel_extILi8ELi8ELi2EdEEv20rocsparse_direction_20rocsparse_operation_iiNS_24const_host_device_scalarIT2_EEPKiS7_PKS4_iiS9_lS5_PS4_l21rocsparse_index_base_b, .Lfunc_end3-_ZN9rocsparseL33gebsrmm_large_blockdim_kernel_extILi8ELi8ELi2EdEEv20rocsparse_direction_20rocsparse_operation_iiNS_24const_host_device_scalarIT2_EEPKiS7_PKS4_iiS9_lS5_PS4_l21rocsparse_index_base_b
                                        ; -- End function
	.set _ZN9rocsparseL33gebsrmm_large_blockdim_kernel_extILi8ELi8ELi2EdEEv20rocsparse_direction_20rocsparse_operation_iiNS_24const_host_device_scalarIT2_EEPKiS7_PKS4_iiS9_lS5_PS4_l21rocsparse_index_base_b.num_vgpr, 29
	.set _ZN9rocsparseL33gebsrmm_large_blockdim_kernel_extILi8ELi8ELi2EdEEv20rocsparse_direction_20rocsparse_operation_iiNS_24const_host_device_scalarIT2_EEPKiS7_PKS4_iiS9_lS5_PS4_l21rocsparse_index_base_b.num_agpr, 0
	.set _ZN9rocsparseL33gebsrmm_large_blockdim_kernel_extILi8ELi8ELi2EdEEv20rocsparse_direction_20rocsparse_operation_iiNS_24const_host_device_scalarIT2_EEPKiS7_PKS4_iiS9_lS5_PS4_l21rocsparse_index_base_b.numbered_sgpr, 30
	.set _ZN9rocsparseL33gebsrmm_large_blockdim_kernel_extILi8ELi8ELi2EdEEv20rocsparse_direction_20rocsparse_operation_iiNS_24const_host_device_scalarIT2_EEPKiS7_PKS4_iiS9_lS5_PS4_l21rocsparse_index_base_b.num_named_barrier, 0
	.set _ZN9rocsparseL33gebsrmm_large_blockdim_kernel_extILi8ELi8ELi2EdEEv20rocsparse_direction_20rocsparse_operation_iiNS_24const_host_device_scalarIT2_EEPKiS7_PKS4_iiS9_lS5_PS4_l21rocsparse_index_base_b.private_seg_size, 0
	.set _ZN9rocsparseL33gebsrmm_large_blockdim_kernel_extILi8ELi8ELi2EdEEv20rocsparse_direction_20rocsparse_operation_iiNS_24const_host_device_scalarIT2_EEPKiS7_PKS4_iiS9_lS5_PS4_l21rocsparse_index_base_b.uses_vcc, 1
	.set _ZN9rocsparseL33gebsrmm_large_blockdim_kernel_extILi8ELi8ELi2EdEEv20rocsparse_direction_20rocsparse_operation_iiNS_24const_host_device_scalarIT2_EEPKiS7_PKS4_iiS9_lS5_PS4_l21rocsparse_index_base_b.uses_flat_scratch, 0
	.set _ZN9rocsparseL33gebsrmm_large_blockdim_kernel_extILi8ELi8ELi2EdEEv20rocsparse_direction_20rocsparse_operation_iiNS_24const_host_device_scalarIT2_EEPKiS7_PKS4_iiS9_lS5_PS4_l21rocsparse_index_base_b.has_dyn_sized_stack, 0
	.set _ZN9rocsparseL33gebsrmm_large_blockdim_kernel_extILi8ELi8ELi2EdEEv20rocsparse_direction_20rocsparse_operation_iiNS_24const_host_device_scalarIT2_EEPKiS7_PKS4_iiS9_lS5_PS4_l21rocsparse_index_base_b.has_recursion, 0
	.set _ZN9rocsparseL33gebsrmm_large_blockdim_kernel_extILi8ELi8ELi2EdEEv20rocsparse_direction_20rocsparse_operation_iiNS_24const_host_device_scalarIT2_EEPKiS7_PKS4_iiS9_lS5_PS4_l21rocsparse_index_base_b.has_indirect_call, 0
	.section	.AMDGPU.csdata,"",@progbits
; Kernel info:
; codeLenInByte = 1480
; TotalNumSgprs: 32
; NumVgprs: 29
; ScratchSize: 0
; MemoryBound: 0
; FloatMode: 240
; IeeeMode: 1
; LDSByteSize: 1536 bytes/workgroup (compile time only)
; SGPRBlocks: 0
; VGPRBlocks: 1
; NumSGPRsForWavesPerEU: 32
; NumVGPRsForWavesPerEU: 29
; NamedBarCnt: 0
; Occupancy: 16
; WaveLimiterHint : 1
; COMPUTE_PGM_RSRC2:SCRATCH_EN: 0
; COMPUTE_PGM_RSRC2:USER_SGPR: 2
; COMPUTE_PGM_RSRC2:TRAP_HANDLER: 0
; COMPUTE_PGM_RSRC2:TGID_X_EN: 1
; COMPUTE_PGM_RSRC2:TGID_Y_EN: 1
; COMPUTE_PGM_RSRC2:TGID_Z_EN: 0
; COMPUTE_PGM_RSRC2:TIDIG_COMP_CNT: 1
	.section	.text._ZN9rocsparseL33gebsrmm_large_blockdim_kernel_extILi16ELi16ELi2EdEEv20rocsparse_direction_20rocsparse_operation_iiNS_24const_host_device_scalarIT2_EEPKiS7_PKS4_iiS9_lS5_PS4_l21rocsparse_index_base_b,"axG",@progbits,_ZN9rocsparseL33gebsrmm_large_blockdim_kernel_extILi16ELi16ELi2EdEEv20rocsparse_direction_20rocsparse_operation_iiNS_24const_host_device_scalarIT2_EEPKiS7_PKS4_iiS9_lS5_PS4_l21rocsparse_index_base_b,comdat
	.globl	_ZN9rocsparseL33gebsrmm_large_blockdim_kernel_extILi16ELi16ELi2EdEEv20rocsparse_direction_20rocsparse_operation_iiNS_24const_host_device_scalarIT2_EEPKiS7_PKS4_iiS9_lS5_PS4_l21rocsparse_index_base_b ; -- Begin function _ZN9rocsparseL33gebsrmm_large_blockdim_kernel_extILi16ELi16ELi2EdEEv20rocsparse_direction_20rocsparse_operation_iiNS_24const_host_device_scalarIT2_EEPKiS7_PKS4_iiS9_lS5_PS4_l21rocsparse_index_base_b
	.p2align	8
	.type	_ZN9rocsparseL33gebsrmm_large_blockdim_kernel_extILi16ELi16ELi2EdEEv20rocsparse_direction_20rocsparse_operation_iiNS_24const_host_device_scalarIT2_EEPKiS7_PKS4_iiS9_lS5_PS4_l21rocsparse_index_base_b,@function
_ZN9rocsparseL33gebsrmm_large_blockdim_kernel_extILi16ELi16ELi2EdEEv20rocsparse_direction_20rocsparse_operation_iiNS_24const_host_device_scalarIT2_EEPKiS7_PKS4_iiS9_lS5_PS4_l21rocsparse_index_base_b: ; @_ZN9rocsparseL33gebsrmm_large_blockdim_kernel_extILi16ELi16ELi2EdEEv20rocsparse_direction_20rocsparse_operation_iiNS_24const_host_device_scalarIT2_EEPKiS7_PKS4_iiS9_lS5_PS4_l21rocsparse_index_base_b
; %bb.0:
	s_clause 0x2
	s_load_b64 s[6:7], s[0:1], 0x60
	s_load_b64 s[2:3], s[0:1], 0x10
	s_load_b128 s[8:11], s[0:1], 0x40
	s_wait_kmcnt 0x0
	s_bitcmp1_b32 s7, 0
	v_mov_b64_e32 v[4:5], s[2:3]
	s_cselect_b32 s4, -1, 0
	s_delay_alu instid0(SALU_CYCLE_1)
	s_and_b32 vcc_lo, exec_lo, s4
	s_xor_b32 s4, s4, -1
	s_cbranch_vccnz .LBB4_2
; %bb.1:
	v_mov_b32_e32 v1, 0
	flat_load_b64 v[4:5], v1, s[2:3]
.LBB4_2:
	v_mov_b64_e32 v[6:7], s[10:11]
	s_and_not1_b32 vcc_lo, exec_lo, s4
	s_cbranch_vccnz .LBB4_4
; %bb.3:
	s_wait_xcnt 0x0
	v_mov_b32_e32 v1, 0
	flat_load_b64 v[6:7], v1, s[10:11]
.LBB4_4:
	s_wait_loadcnt_dscnt 0x0
	v_cmp_neq_f64_e32 vcc_lo, 0, v[4:5]
	s_delay_alu instid0(VALU_DEP_2) | instskip(SKIP_1) | instid1(SALU_CYCLE_1)
	v_cmp_neq_f64_e64 s2, 1.0, v[6:7]
	s_or_b32 s2, vcc_lo, s2
	s_and_saveexec_b32 s3, s2
	s_cbranch_execz .LBB4_47
; %bb.5:
	s_load_b128 s[16:19], s[0:1], 0x0
	s_bfe_u32 s2, ttmp6, 0x4000c
	s_and_b32 s3, ttmp6, 15
	s_add_co_i32 s2, s2, 1
	s_mov_b32 s22, 0
	s_mul_i32 s4, ttmp9, s2
	s_getreg_b32 s2, hwreg(HW_REG_IB_STS2, 6, 4)
	s_add_co_i32 s3, s3, s4
	s_cmp_eq_u32 s2, 0
	s_mov_b32 s7, 0
	s_cselect_b32 s10, ttmp9, s3
	s_wait_kmcnt 0x0
	s_cmp_lt_i32 s10, s18
	s_cselect_b32 s24, -1, 0
	s_cmp_ge_i32 s10, s18
	s_cbranch_scc1 .LBB4_7
; %bb.6:
	s_load_b64 s[4:5], s[0:1], 0x18
	s_ashr_i32 s11, s10, 31
	s_delay_alu instid0(SALU_CYCLE_1)
	s_lshl_b64 s[12:13], s[10:11], 2
	s_wait_kmcnt 0x0
	s_add_nc_u64 s[4:5], s[4:5], s[12:13]
	s_load_b64 s[12:13], s[4:5], 0x0
	s_wait_kmcnt 0x0
	s_sub_co_i32 s22, s12, s6
	s_sub_co_i32 s7, s13, s6
.LBB4_7:
	s_bfe_u32 s3, ttmp6, 0x40010
	s_load_b64 s[20:21], s[0:1], 0x30
	s_add_co_i32 s3, s3, 1
	s_bfe_u32 s4, ttmp6, 0x40004
	s_mul_i32 s3, ttmp7, s3
	v_bfe_u32 v1, v0, 10, 10
	s_add_co_i32 s4, s4, s3
	s_cmp_eq_u32 s2, 0
	v_and_b32_e32 v22, 0x3ff, v0
	s_cselect_b32 s2, ttmp7, s4
	s_cmp_ge_i32 s22, s7
	v_lshl_add_u32 v10, s2, 5, v1
	s_delay_alu instid0(VALU_DEP_1) | instskip(SKIP_3) | instid1(VALU_DEP_3)
	v_add_nc_u32_e32 v8, 16, v10
	v_cmp_gt_i32_e64 s3, s19, v10
	s_wait_kmcnt 0x0
	v_cmp_gt_i32_e64 s4, s20, v22
	v_cmp_gt_i32_e64 s2, s19, v8
	s_cbranch_scc1 .LBB4_35
; %bb.8:
	v_dual_ashrrev_i32 v11, 31, v10 :: v_dual_ashrrev_i32 v9, 31, v8
	s_clause 0x1
	s_load_b128 s[12:15], s[0:1], 0x20
	s_load_b64 s[18:19], s[0:1], 0x38
	v_cmp_gt_i32_e32 vcc_lo, s21, v1
	v_mad_u32 v2, s20, v1, v22
	v_mul_u64_e32 v[12:13], s[8:9], v[10:11]
	v_mul_u64_e32 v[14:15], s[8:9], v[8:9]
	v_mad_u32 v3, s21, v22, v1
	s_and_b32 s11, s4, vcc_lo
	s_cmp_lg_u32 s17, 0x6f
	v_lshl_add_u32 v16, v1, 3, 0x1000
	v_dual_lshlrev_b32 v17, 3, v22 :: v_dual_lshlrev_b32 v23, 7, v1
	v_dual_lshlrev_b32 v18, 7, v22 :: v_dual_mov_b32 v0, 0
	s_cselect_b32 s17, -1, 0
	s_cmp_eq_u32 s16, 0
	v_cmp_gt_i32_e64 s5, s21, v22
	s_cselect_b32 vcc_lo, -1, 0
	s_cmp_gt_i32 s21, 0
	v_dual_cndmask_b32 v24, v2, v3 :: v_dual_add_nc_u32 v25, 0x1000, v18
	v_dual_mov_b32 v1, v0 :: v_dual_add_nc_u32 v26, 0x800, v23
	v_dual_mov_b32 v2, v0 :: v_dual_mov_b32 v3, v0
	v_dual_add_nc_u32 v27, v17, v23 :: v_dual_add_nc_u32 v28, v16, v18
	s_cselect_b32 s23, -1, 0
	s_mul_i32 s16, s21, s20
	s_and_b32 s25, s3, s23
	s_and_b32 s26, s2, s23
	s_branch .LBB4_11
.LBB4_9:                                ;   in Loop: Header=BB4_11 Depth=1
	s_or_b32 exec_lo, exec_lo, s27
.LBB4_10:                               ;   in Loop: Header=BB4_11 Depth=1
	s_delay_alu instid0(SALU_CYCLE_1) | instskip(SKIP_1) | instid1(SALU_CYCLE_1)
	s_or_b32 exec_lo, exec_lo, s23
	s_add_co_i32 s22, s22, 1
	s_cmp_ge_i32 s22, s7
	s_barrier_signal -1
	s_barrier_wait -1
	s_cbranch_scc1 .LBB4_36
.LBB4_11:                               ; =>This Loop Header: Depth=1
                                        ;     Child Loop BB4_31 Depth 2
                                        ;     Child Loop BB4_34 Depth 2
	s_and_saveexec_b32 s27, s5
	s_cbranch_execz .LBB4_26
; %bb.12:                               ;   in Loop: Header=BB4_11 Depth=1
	s_ashr_i32 s23, s22, 31
	s_and_not1_b32 vcc_lo, exec_lo, s17
	s_lshl_b64 s[28:29], s[22:23], 2
	s_wait_kmcnt 0x0
	s_add_nc_u64 s[28:29], s[12:13], s[28:29]
	s_load_b32 s23, s[28:29], 0x0
	s_wait_kmcnt 0x0
	s_sub_co_i32 s23, s23, s6
	s_delay_alu instid0(SALU_CYCLE_1) | instskip(NEXT) | instid1(VALU_DEP_1)
	v_mad_u32 v16, s23, s21, v22
	v_ashrrev_i32_e32 v17, 31, v16
	s_cbranch_vccnz .LBB4_18
; %bb.13:                               ;   in Loop: Header=BB4_11 Depth=1
	s_delay_alu instid0(VALU_DEP_1) | instskip(NEXT) | instid1(VALU_DEP_1)
	v_mul_u64_e32 v[18:19], s[8:9], v[16:17]
	v_lshl_add_u64 v[20:21], v[18:19], 3, s[18:19]
	s_and_saveexec_b32 s23, s3
	s_cbranch_execz .LBB4_15
; %bb.14:                               ;   in Loop: Header=BB4_11 Depth=1
	s_delay_alu instid0(VALU_DEP_1)
	v_lshl_add_u64 v[18:19], v[10:11], 3, v[20:21]
	global_load_b64 v[18:19], v[18:19], off
	s_wait_loadcnt 0x0
	ds_store_b64 v27, v[18:19]
.LBB4_15:                               ;   in Loop: Header=BB4_11 Depth=1
	s_or_b32 exec_lo, exec_lo, s23
	s_mov_b32 s28, 0
	s_mov_b32 s23, 0
                                        ; implicit-def: $vgpr18_vgpr19
	s_and_saveexec_b32 s29, s2
	s_delay_alu instid0(SALU_CYCLE_1)
	s_xor_b32 s29, exec_lo, s29
; %bb.16:                               ;   in Loop: Header=BB4_11 Depth=1
	v_lshl_add_u64 v[18:19], v[8:9], 3, v[20:21]
	s_mov_b32 s23, exec_lo
; %bb.17:                               ;   in Loop: Header=BB4_11 Depth=1
	s_or_b32 exec_lo, exec_lo, s29
	s_delay_alu instid0(SALU_CYCLE_1)
	s_and_b32 vcc_lo, exec_lo, s28
	s_cbranch_vccnz .LBB4_19
	s_branch .LBB4_24
.LBB4_18:                               ;   in Loop: Header=BB4_11 Depth=1
	s_mov_b32 s23, 0
                                        ; implicit-def: $vgpr18_vgpr19
	s_cbranch_execz .LBB4_24
.LBB4_19:                               ;   in Loop: Header=BB4_11 Depth=1
	s_delay_alu instid0(VALU_DEP_1)
	v_lshl_add_u64 v[16:17], v[16:17], 3, s[18:19]
	s_and_saveexec_b32 s28, s3
	s_cbranch_execz .LBB4_21
; %bb.20:                               ;   in Loop: Header=BB4_11 Depth=1
	s_delay_alu instid0(VALU_DEP_1)
	v_lshl_add_u64 v[18:19], v[12:13], 3, v[16:17]
	global_load_b64 v[18:19], v[18:19], off
	s_wait_loadcnt 0x0
	ds_store_b64 v27, v[18:19]
.LBB4_21:                               ;   in Loop: Header=BB4_11 Depth=1
	s_or_b32 exec_lo, exec_lo, s28
                                        ; implicit-def: $vgpr18_vgpr19
	s_and_saveexec_b32 s28, s2
; %bb.22:                               ;   in Loop: Header=BB4_11 Depth=1
	v_lshl_add_u64 v[18:19], v[14:15], 3, v[16:17]
	s_or_b32 s23, s23, exec_lo
; %bb.23:                               ;   in Loop: Header=BB4_11 Depth=1
	s_or_b32 exec_lo, exec_lo, s28
.LBB4_24:                               ;   in Loop: Header=BB4_11 Depth=1
	s_delay_alu instid0(SALU_CYCLE_1)
	s_and_b32 exec_lo, exec_lo, s23
	s_cbranch_execz .LBB4_26
; %bb.25:                               ;   in Loop: Header=BB4_11 Depth=1
	global_load_b64 v[16:17], v[18:19], off
	s_wait_loadcnt 0x0
	ds_store_b64 v27, v[16:17] offset:2048
.LBB4_26:                               ;   in Loop: Header=BB4_11 Depth=1
	s_or_b32 exec_lo, exec_lo, s27
	s_and_saveexec_b32 s23, s11
	s_cbranch_execz .LBB4_28
; %bb.27:                               ;   in Loop: Header=BB4_11 Depth=1
	v_mad_u32 v16, s16, s22, v24
	s_wait_kmcnt 0x0
	global_load_b64 v[16:17], v16, s[14:15] scale_offset
	s_wait_loadcnt 0x0
	ds_store_b64 v28, v[16:17]
.LBB4_28:                               ;   in Loop: Header=BB4_11 Depth=1
	s_or_b32 exec_lo, exec_lo, s23
	s_wait_dscnt 0x0
	s_barrier_signal -1
	s_barrier_wait -1
	s_and_saveexec_b32 s23, s4
	s_cbranch_execz .LBB4_10
; %bb.29:                               ;   in Loop: Header=BB4_11 Depth=1
	s_and_saveexec_b32 s27, s25
	s_cbranch_execz .LBB4_32
; %bb.30:                               ;   in Loop: Header=BB4_11 Depth=1
	v_dual_mov_b32 v16, v25 :: v_dual_mov_b32 v17, v23
	s_mov_b32 s28, s21
.LBB4_31:                               ;   Parent Loop BB4_11 Depth=1
                                        ; =>  This Inner Loop Header: Depth=2
	ds_load_b64 v[18:19], v16
	ds_load_b64 v[20:21], v17
	v_dual_add_nc_u32 v17, 8, v17 :: v_dual_add_nc_u32 v16, 8, v16
	s_add_co_i32 s28, s28, -1
	s_delay_alu instid0(SALU_CYCLE_1)
	s_cmp_lg_u32 s28, 0
	s_wait_dscnt 0x0
	v_fmac_f64_e32 v[0:1], v[18:19], v[20:21]
	s_cbranch_scc1 .LBB4_31
.LBB4_32:                               ;   in Loop: Header=BB4_11 Depth=1
	s_or_b32 exec_lo, exec_lo, s27
	s_and_saveexec_b32 s27, s26
	s_cbranch_execz .LBB4_9
; %bb.33:                               ;   in Loop: Header=BB4_11 Depth=1
	v_dual_mov_b32 v16, v25 :: v_dual_mov_b32 v17, v26
	s_mov_b32 s28, s21
.LBB4_34:                               ;   Parent Loop BB4_11 Depth=1
                                        ; =>  This Inner Loop Header: Depth=2
	ds_load_b64 v[18:19], v16
	ds_load_b64 v[20:21], v17
	v_dual_add_nc_u32 v17, 8, v17 :: v_dual_add_nc_u32 v16, 8, v16
	s_add_co_i32 s28, s28, -1
	s_delay_alu instid0(SALU_CYCLE_1)
	s_cmp_lg_u32 s28, 0
	s_wait_dscnt 0x0
	v_fmac_f64_e32 v[2:3], v[18:19], v[20:21]
	s_cbranch_scc1 .LBB4_34
	s_branch .LBB4_9
.LBB4_35:
	v_mov_b32_e32 v0, 0
	s_delay_alu instid0(VALU_DEP_1)
	v_dual_mov_b32 v1, v0 :: v_dual_mov_b32 v2, v0
	v_mov_b32_e32 v3, v0
.LBB4_36:
	s_load_b64 s[6:7], s[0:1], 0x50
	s_and_b32 s4, s24, s4
	s_delay_alu instid0(SALU_CYCLE_1)
	s_and_b32 exec_lo, exec_lo, s4
	s_cbranch_execz .LBB4_47
; %bb.37:
	v_mad_u32 v12, s20, s10, v22
	s_wait_xcnt 0x0
	s_load_b64 s[0:1], s[0:1], 0x58
	v_cmp_neq_f64_e32 vcc_lo, 0, v[6:7]
	s_delay_alu instid0(VALU_DEP_2) | instskip(SKIP_1) | instid1(VALU_DEP_1)
	v_ashrrev_i32_e32 v13, 31, v12
	s_wait_kmcnt 0x0
	v_lshl_add_u64 v[12:13], v[12:13], 3, s[6:7]
	s_and_saveexec_b32 s4, s3
	s_cbranch_execz .LBB4_42
; %bb.38:
	v_ashrrev_i32_e32 v11, 31, v10
	s_and_saveexec_b32 s3, vcc_lo
	s_delay_alu instid0(SALU_CYCLE_1)
	s_xor_b32 s3, exec_lo, s3
	s_cbranch_execz .LBB4_40
; %bb.39:
	s_delay_alu instid0(VALU_DEP_1) | instskip(SKIP_1) | instid1(VALU_DEP_2)
	v_mul_u64_e32 v[10:11], s[0:1], v[10:11]
	v_mul_f64_e32 v[16:17], v[4:5], v[0:1]
	v_lshl_add_u64 v[10:11], v[10:11], 3, v[12:13]
	global_load_b64 v[14:15], v[10:11], off
	s_wait_loadcnt 0x0
	v_fmac_f64_e32 v[16:17], v[6:7], v[14:15]
	global_store_b64 v[10:11], v[16:17], off
                                        ; implicit-def: $vgpr10
.LBB4_40:
	s_wait_xcnt 0x0
	s_and_not1_saveexec_b32 s3, s3
	s_cbranch_execz .LBB4_42
; %bb.41:
	v_mul_u64_e32 v[10:11], s[0:1], v[10:11]
	v_mul_f64_e32 v[0:1], v[4:5], v[0:1]
	s_delay_alu instid0(VALU_DEP_2)
	v_lshl_add_u64 v[10:11], v[10:11], 3, v[12:13]
	global_store_b64 v[10:11], v[0:1], off
.LBB4_42:
	s_wait_xcnt 0x0
	s_or_b32 exec_lo, exec_lo, s4
	s_delay_alu instid0(SALU_CYCLE_1)
	s_and_b32 exec_lo, exec_lo, s2
	s_cbranch_execz .LBB4_47
; %bb.43:
	v_ashrrev_i32_e32 v9, 31, v8
	s_and_saveexec_b32 s2, vcc_lo
	s_delay_alu instid0(SALU_CYCLE_1)
	s_xor_b32 s2, exec_lo, s2
	s_cbranch_execz .LBB4_45
; %bb.44:
	s_delay_alu instid0(VALU_DEP_1) | instskip(SKIP_1) | instid1(VALU_DEP_2)
	v_mul_u64_e32 v[0:1], s[0:1], v[8:9]
	v_mul_f64_e32 v[2:3], v[4:5], v[2:3]
                                        ; implicit-def: $vgpr4_vgpr5
	v_lshl_add_u64 v[0:1], v[0:1], 3, v[12:13]
                                        ; implicit-def: $vgpr12_vgpr13
	global_load_b64 v[8:9], v[0:1], off
	s_wait_loadcnt 0x0
	v_fmac_f64_e32 v[2:3], v[6:7], v[8:9]
                                        ; implicit-def: $vgpr8
	global_store_b64 v[0:1], v[2:3], off
                                        ; implicit-def: $vgpr0_vgpr1_vgpr2_vgpr3
.LBB4_45:
	s_wait_xcnt 0x0
	s_and_not1_saveexec_b32 s2, s2
	s_cbranch_execz .LBB4_47
; %bb.46:
	v_mul_u64_e32 v[0:1], s[0:1], v[8:9]
	v_mul_f64_e32 v[2:3], v[4:5], v[2:3]
	s_delay_alu instid0(VALU_DEP_2)
	v_lshl_add_u64 v[0:1], v[0:1], 3, v[12:13]
	global_store_b64 v[0:1], v[2:3], off
.LBB4_47:
	s_endpgm
	.section	.rodata,"a",@progbits
	.p2align	6, 0x0
	.amdhsa_kernel _ZN9rocsparseL33gebsrmm_large_blockdim_kernel_extILi16ELi16ELi2EdEEv20rocsparse_direction_20rocsparse_operation_iiNS_24const_host_device_scalarIT2_EEPKiS7_PKS4_iiS9_lS5_PS4_l21rocsparse_index_base_b
		.amdhsa_group_segment_fixed_size 6144
		.amdhsa_private_segment_fixed_size 0
		.amdhsa_kernarg_size 104
		.amdhsa_user_sgpr_count 2
		.amdhsa_user_sgpr_dispatch_ptr 0
		.amdhsa_user_sgpr_queue_ptr 0
		.amdhsa_user_sgpr_kernarg_segment_ptr 1
		.amdhsa_user_sgpr_dispatch_id 0
		.amdhsa_user_sgpr_kernarg_preload_length 0
		.amdhsa_user_sgpr_kernarg_preload_offset 0
		.amdhsa_user_sgpr_private_segment_size 0
		.amdhsa_wavefront_size32 1
		.amdhsa_uses_dynamic_stack 0
		.amdhsa_enable_private_segment 0
		.amdhsa_system_sgpr_workgroup_id_x 1
		.amdhsa_system_sgpr_workgroup_id_y 1
		.amdhsa_system_sgpr_workgroup_id_z 0
		.amdhsa_system_sgpr_workgroup_info 0
		.amdhsa_system_vgpr_workitem_id 1
		.amdhsa_next_free_vgpr 29
		.amdhsa_next_free_sgpr 30
		.amdhsa_named_barrier_count 0
		.amdhsa_reserve_vcc 1
		.amdhsa_float_round_mode_32 0
		.amdhsa_float_round_mode_16_64 0
		.amdhsa_float_denorm_mode_32 3
		.amdhsa_float_denorm_mode_16_64 3
		.amdhsa_fp16_overflow 0
		.amdhsa_memory_ordered 1
		.amdhsa_forward_progress 1
		.amdhsa_inst_pref_size 12
		.amdhsa_round_robin_scheduling 0
		.amdhsa_exception_fp_ieee_invalid_op 0
		.amdhsa_exception_fp_denorm_src 0
		.amdhsa_exception_fp_ieee_div_zero 0
		.amdhsa_exception_fp_ieee_overflow 0
		.amdhsa_exception_fp_ieee_underflow 0
		.amdhsa_exception_fp_ieee_inexact 0
		.amdhsa_exception_int_div_zero 0
	.end_amdhsa_kernel
	.section	.text._ZN9rocsparseL33gebsrmm_large_blockdim_kernel_extILi16ELi16ELi2EdEEv20rocsparse_direction_20rocsparse_operation_iiNS_24const_host_device_scalarIT2_EEPKiS7_PKS4_iiS9_lS5_PS4_l21rocsparse_index_base_b,"axG",@progbits,_ZN9rocsparseL33gebsrmm_large_blockdim_kernel_extILi16ELi16ELi2EdEEv20rocsparse_direction_20rocsparse_operation_iiNS_24const_host_device_scalarIT2_EEPKiS7_PKS4_iiS9_lS5_PS4_l21rocsparse_index_base_b,comdat
.Lfunc_end4:
	.size	_ZN9rocsparseL33gebsrmm_large_blockdim_kernel_extILi16ELi16ELi2EdEEv20rocsparse_direction_20rocsparse_operation_iiNS_24const_host_device_scalarIT2_EEPKiS7_PKS4_iiS9_lS5_PS4_l21rocsparse_index_base_b, .Lfunc_end4-_ZN9rocsparseL33gebsrmm_large_blockdim_kernel_extILi16ELi16ELi2EdEEv20rocsparse_direction_20rocsparse_operation_iiNS_24const_host_device_scalarIT2_EEPKiS7_PKS4_iiS9_lS5_PS4_l21rocsparse_index_base_b
                                        ; -- End function
	.set _ZN9rocsparseL33gebsrmm_large_blockdim_kernel_extILi16ELi16ELi2EdEEv20rocsparse_direction_20rocsparse_operation_iiNS_24const_host_device_scalarIT2_EEPKiS7_PKS4_iiS9_lS5_PS4_l21rocsparse_index_base_b.num_vgpr, 29
	.set _ZN9rocsparseL33gebsrmm_large_blockdim_kernel_extILi16ELi16ELi2EdEEv20rocsparse_direction_20rocsparse_operation_iiNS_24const_host_device_scalarIT2_EEPKiS7_PKS4_iiS9_lS5_PS4_l21rocsparse_index_base_b.num_agpr, 0
	.set _ZN9rocsparseL33gebsrmm_large_blockdim_kernel_extILi16ELi16ELi2EdEEv20rocsparse_direction_20rocsparse_operation_iiNS_24const_host_device_scalarIT2_EEPKiS7_PKS4_iiS9_lS5_PS4_l21rocsparse_index_base_b.numbered_sgpr, 30
	.set _ZN9rocsparseL33gebsrmm_large_blockdim_kernel_extILi16ELi16ELi2EdEEv20rocsparse_direction_20rocsparse_operation_iiNS_24const_host_device_scalarIT2_EEPKiS7_PKS4_iiS9_lS5_PS4_l21rocsparse_index_base_b.num_named_barrier, 0
	.set _ZN9rocsparseL33gebsrmm_large_blockdim_kernel_extILi16ELi16ELi2EdEEv20rocsparse_direction_20rocsparse_operation_iiNS_24const_host_device_scalarIT2_EEPKiS7_PKS4_iiS9_lS5_PS4_l21rocsparse_index_base_b.private_seg_size, 0
	.set _ZN9rocsparseL33gebsrmm_large_blockdim_kernel_extILi16ELi16ELi2EdEEv20rocsparse_direction_20rocsparse_operation_iiNS_24const_host_device_scalarIT2_EEPKiS7_PKS4_iiS9_lS5_PS4_l21rocsparse_index_base_b.uses_vcc, 1
	.set _ZN9rocsparseL33gebsrmm_large_blockdim_kernel_extILi16ELi16ELi2EdEEv20rocsparse_direction_20rocsparse_operation_iiNS_24const_host_device_scalarIT2_EEPKiS7_PKS4_iiS9_lS5_PS4_l21rocsparse_index_base_b.uses_flat_scratch, 0
	.set _ZN9rocsparseL33gebsrmm_large_blockdim_kernel_extILi16ELi16ELi2EdEEv20rocsparse_direction_20rocsparse_operation_iiNS_24const_host_device_scalarIT2_EEPKiS7_PKS4_iiS9_lS5_PS4_l21rocsparse_index_base_b.has_dyn_sized_stack, 0
	.set _ZN9rocsparseL33gebsrmm_large_blockdim_kernel_extILi16ELi16ELi2EdEEv20rocsparse_direction_20rocsparse_operation_iiNS_24const_host_device_scalarIT2_EEPKiS7_PKS4_iiS9_lS5_PS4_l21rocsparse_index_base_b.has_recursion, 0
	.set _ZN9rocsparseL33gebsrmm_large_blockdim_kernel_extILi16ELi16ELi2EdEEv20rocsparse_direction_20rocsparse_operation_iiNS_24const_host_device_scalarIT2_EEPKiS7_PKS4_iiS9_lS5_PS4_l21rocsparse_index_base_b.has_indirect_call, 0
	.section	.AMDGPU.csdata,"",@progbits
; Kernel info:
; codeLenInByte = 1480
; TotalNumSgprs: 32
; NumVgprs: 29
; ScratchSize: 0
; MemoryBound: 0
; FloatMode: 240
; IeeeMode: 1
; LDSByteSize: 6144 bytes/workgroup (compile time only)
; SGPRBlocks: 0
; VGPRBlocks: 1
; NumSGPRsForWavesPerEU: 32
; NumVGPRsForWavesPerEU: 29
; NamedBarCnt: 0
; Occupancy: 16
; WaveLimiterHint : 1
; COMPUTE_PGM_RSRC2:SCRATCH_EN: 0
; COMPUTE_PGM_RSRC2:USER_SGPR: 2
; COMPUTE_PGM_RSRC2:TRAP_HANDLER: 0
; COMPUTE_PGM_RSRC2:TGID_X_EN: 1
; COMPUTE_PGM_RSRC2:TGID_Y_EN: 1
; COMPUTE_PGM_RSRC2:TGID_Z_EN: 0
; COMPUTE_PGM_RSRC2:TIDIG_COMP_CNT: 1
	.section	.text._ZN9rocsparseL33gebsrmm_large_blockdim_kernel_extILi32ELi32ELi2EdEEv20rocsparse_direction_20rocsparse_operation_iiNS_24const_host_device_scalarIT2_EEPKiS7_PKS4_iiS9_lS5_PS4_l21rocsparse_index_base_b,"axG",@progbits,_ZN9rocsparseL33gebsrmm_large_blockdim_kernel_extILi32ELi32ELi2EdEEv20rocsparse_direction_20rocsparse_operation_iiNS_24const_host_device_scalarIT2_EEPKiS7_PKS4_iiS9_lS5_PS4_l21rocsparse_index_base_b,comdat
	.globl	_ZN9rocsparseL33gebsrmm_large_blockdim_kernel_extILi32ELi32ELi2EdEEv20rocsparse_direction_20rocsparse_operation_iiNS_24const_host_device_scalarIT2_EEPKiS7_PKS4_iiS9_lS5_PS4_l21rocsparse_index_base_b ; -- Begin function _ZN9rocsparseL33gebsrmm_large_blockdim_kernel_extILi32ELi32ELi2EdEEv20rocsparse_direction_20rocsparse_operation_iiNS_24const_host_device_scalarIT2_EEPKiS7_PKS4_iiS9_lS5_PS4_l21rocsparse_index_base_b
	.p2align	8
	.type	_ZN9rocsparseL33gebsrmm_large_blockdim_kernel_extILi32ELi32ELi2EdEEv20rocsparse_direction_20rocsparse_operation_iiNS_24const_host_device_scalarIT2_EEPKiS7_PKS4_iiS9_lS5_PS4_l21rocsparse_index_base_b,@function
_ZN9rocsparseL33gebsrmm_large_blockdim_kernel_extILi32ELi32ELi2EdEEv20rocsparse_direction_20rocsparse_operation_iiNS_24const_host_device_scalarIT2_EEPKiS7_PKS4_iiS9_lS5_PS4_l21rocsparse_index_base_b: ; @_ZN9rocsparseL33gebsrmm_large_blockdim_kernel_extILi32ELi32ELi2EdEEv20rocsparse_direction_20rocsparse_operation_iiNS_24const_host_device_scalarIT2_EEPKiS7_PKS4_iiS9_lS5_PS4_l21rocsparse_index_base_b
; %bb.0:
	s_clause 0x2
	s_load_b64 s[6:7], s[0:1], 0x60
	s_load_b64 s[2:3], s[0:1], 0x10
	s_load_b128 s[8:11], s[0:1], 0x40
	s_wait_kmcnt 0x0
	s_bitcmp1_b32 s7, 0
	v_mov_b64_e32 v[4:5], s[2:3]
	s_cselect_b32 s4, -1, 0
	s_delay_alu instid0(SALU_CYCLE_1)
	s_and_b32 vcc_lo, exec_lo, s4
	s_xor_b32 s4, s4, -1
	s_cbranch_vccnz .LBB5_2
; %bb.1:
	v_mov_b32_e32 v1, 0
	flat_load_b64 v[4:5], v1, s[2:3]
.LBB5_2:
	v_mov_b64_e32 v[6:7], s[10:11]
	s_and_not1_b32 vcc_lo, exec_lo, s4
	s_cbranch_vccnz .LBB5_4
; %bb.3:
	s_wait_xcnt 0x0
	v_mov_b32_e32 v1, 0
	flat_load_b64 v[6:7], v1, s[10:11]
.LBB5_4:
	s_wait_loadcnt_dscnt 0x0
	v_cmp_neq_f64_e32 vcc_lo, 0, v[4:5]
	s_delay_alu instid0(VALU_DEP_2) | instskip(SKIP_1) | instid1(SALU_CYCLE_1)
	v_cmp_neq_f64_e64 s2, 1.0, v[6:7]
	s_or_b32 s2, vcc_lo, s2
	s_and_saveexec_b32 s3, s2
	s_cbranch_execz .LBB5_47
; %bb.5:
	s_load_b128 s[16:19], s[0:1], 0x0
	s_bfe_u32 s2, ttmp6, 0x4000c
	s_and_b32 s3, ttmp6, 15
	s_add_co_i32 s2, s2, 1
	s_mov_b32 s22, 0
	s_mul_i32 s4, ttmp9, s2
	s_getreg_b32 s2, hwreg(HW_REG_IB_STS2, 6, 4)
	s_add_co_i32 s3, s3, s4
	s_cmp_eq_u32 s2, 0
	s_mov_b32 s7, 0
	s_cselect_b32 s10, ttmp9, s3
	s_wait_kmcnt 0x0
	s_cmp_lt_i32 s10, s18
	s_cselect_b32 s24, -1, 0
	s_cmp_ge_i32 s10, s18
	s_cbranch_scc1 .LBB5_7
; %bb.6:
	s_load_b64 s[4:5], s[0:1], 0x18
	s_ashr_i32 s11, s10, 31
	s_delay_alu instid0(SALU_CYCLE_1)
	s_lshl_b64 s[12:13], s[10:11], 2
	s_wait_kmcnt 0x0
	s_add_nc_u64 s[4:5], s[4:5], s[12:13]
	s_load_b64 s[12:13], s[4:5], 0x0
	s_wait_kmcnt 0x0
	s_sub_co_i32 s22, s12, s6
	s_sub_co_i32 s7, s13, s6
.LBB5_7:
	s_bfe_u32 s3, ttmp6, 0x40010
	s_load_b64 s[20:21], s[0:1], 0x30
	s_add_co_i32 s3, s3, 1
	s_bfe_u32 s4, ttmp6, 0x40004
	s_mul_i32 s3, ttmp7, s3
	v_bfe_u32 v1, v0, 10, 10
	s_add_co_i32 s4, s4, s3
	s_cmp_eq_u32 s2, 0
	v_and_b32_e32 v22, 0x3ff, v0
	s_cselect_b32 s2, ttmp7, s4
	s_cmp_ge_i32 s22, s7
	v_lshl_add_u32 v10, s2, 6, v1
	s_delay_alu instid0(VALU_DEP_1) | instskip(SKIP_3) | instid1(VALU_DEP_3)
	v_add_nc_u32_e32 v8, 32, v10
	v_cmp_gt_i32_e64 s3, s19, v10
	s_wait_kmcnt 0x0
	v_cmp_gt_i32_e64 s4, s20, v22
	v_cmp_gt_i32_e64 s2, s19, v8
	s_cbranch_scc1 .LBB5_35
; %bb.8:
	v_dual_ashrrev_i32 v11, 31, v10 :: v_dual_ashrrev_i32 v9, 31, v8
	s_clause 0x1
	s_load_b128 s[12:15], s[0:1], 0x20
	s_load_b64 s[18:19], s[0:1], 0x38
	v_cmp_gt_i32_e32 vcc_lo, s21, v1
	v_mad_u32 v2, s20, v1, v22
	v_mul_u64_e32 v[12:13], s[8:9], v[10:11]
	v_mul_u64_e32 v[14:15], s[8:9], v[8:9]
	v_mad_u32 v3, s21, v22, v1
	s_and_b32 s11, s4, vcc_lo
	s_cmp_lg_u32 s17, 0x6f
	v_lshl_or_b32 v16, v1, 3, 0x4000
	v_dual_lshlrev_b32 v17, 3, v22 :: v_dual_lshlrev_b32 v23, 8, v1
	v_dual_lshlrev_b32 v18, 8, v22 :: v_dual_mov_b32 v0, 0
	s_cselect_b32 s17, -1, 0
	s_cmp_eq_u32 s16, 0
	v_cmp_gt_i32_e64 s5, s21, v22
	s_cselect_b32 vcc_lo, -1, 0
	s_cmp_gt_i32 s21, 0
	v_dual_cndmask_b32 v24, v2, v3 :: v_dual_add_nc_u32 v25, 0x4000, v18
	v_dual_mov_b32 v1, v0 :: v_dual_add_nc_u32 v26, 0x2000, v23
	v_dual_mov_b32 v2, v0 :: v_dual_mov_b32 v3, v0
	v_dual_add_nc_u32 v27, v17, v23 :: v_dual_add_nc_u32 v28, v16, v18
	s_cselect_b32 s23, -1, 0
	s_mul_i32 s16, s21, s20
	s_and_b32 s25, s3, s23
	s_and_b32 s26, s2, s23
	s_branch .LBB5_11
.LBB5_9:                                ;   in Loop: Header=BB5_11 Depth=1
	s_or_b32 exec_lo, exec_lo, s27
.LBB5_10:                               ;   in Loop: Header=BB5_11 Depth=1
	s_delay_alu instid0(SALU_CYCLE_1) | instskip(SKIP_1) | instid1(SALU_CYCLE_1)
	s_or_b32 exec_lo, exec_lo, s23
	s_add_co_i32 s22, s22, 1
	s_cmp_ge_i32 s22, s7
	s_barrier_signal -1
	s_barrier_wait -1
	s_cbranch_scc1 .LBB5_36
.LBB5_11:                               ; =>This Loop Header: Depth=1
                                        ;     Child Loop BB5_31 Depth 2
                                        ;     Child Loop BB5_34 Depth 2
	s_and_saveexec_b32 s27, s5
	s_cbranch_execz .LBB5_26
; %bb.12:                               ;   in Loop: Header=BB5_11 Depth=1
	s_ashr_i32 s23, s22, 31
	s_and_not1_b32 vcc_lo, exec_lo, s17
	s_lshl_b64 s[28:29], s[22:23], 2
	s_wait_kmcnt 0x0
	s_add_nc_u64 s[28:29], s[12:13], s[28:29]
	s_load_b32 s23, s[28:29], 0x0
	s_wait_kmcnt 0x0
	s_sub_co_i32 s23, s23, s6
	s_delay_alu instid0(SALU_CYCLE_1) | instskip(NEXT) | instid1(VALU_DEP_1)
	v_mad_u32 v16, s23, s21, v22
	v_ashrrev_i32_e32 v17, 31, v16
	s_cbranch_vccnz .LBB5_18
; %bb.13:                               ;   in Loop: Header=BB5_11 Depth=1
	s_delay_alu instid0(VALU_DEP_1) | instskip(NEXT) | instid1(VALU_DEP_1)
	v_mul_u64_e32 v[18:19], s[8:9], v[16:17]
	v_lshl_add_u64 v[20:21], v[18:19], 3, s[18:19]
	s_and_saveexec_b32 s23, s3
	s_cbranch_execz .LBB5_15
; %bb.14:                               ;   in Loop: Header=BB5_11 Depth=1
	s_delay_alu instid0(VALU_DEP_1)
	v_lshl_add_u64 v[18:19], v[10:11], 3, v[20:21]
	global_load_b64 v[18:19], v[18:19], off
	s_wait_loadcnt 0x0
	ds_store_b64 v27, v[18:19]
.LBB5_15:                               ;   in Loop: Header=BB5_11 Depth=1
	s_or_b32 exec_lo, exec_lo, s23
	s_mov_b32 s28, 0
	s_mov_b32 s23, 0
                                        ; implicit-def: $vgpr18_vgpr19
	s_and_saveexec_b32 s29, s2
	s_delay_alu instid0(SALU_CYCLE_1)
	s_xor_b32 s29, exec_lo, s29
; %bb.16:                               ;   in Loop: Header=BB5_11 Depth=1
	v_lshl_add_u64 v[18:19], v[8:9], 3, v[20:21]
	s_mov_b32 s23, exec_lo
; %bb.17:                               ;   in Loop: Header=BB5_11 Depth=1
	s_or_b32 exec_lo, exec_lo, s29
	s_delay_alu instid0(SALU_CYCLE_1)
	s_and_b32 vcc_lo, exec_lo, s28
	s_cbranch_vccnz .LBB5_19
	s_branch .LBB5_24
.LBB5_18:                               ;   in Loop: Header=BB5_11 Depth=1
	s_mov_b32 s23, 0
                                        ; implicit-def: $vgpr18_vgpr19
	s_cbranch_execz .LBB5_24
.LBB5_19:                               ;   in Loop: Header=BB5_11 Depth=1
	s_delay_alu instid0(VALU_DEP_1)
	v_lshl_add_u64 v[16:17], v[16:17], 3, s[18:19]
	s_and_saveexec_b32 s28, s3
	s_cbranch_execz .LBB5_21
; %bb.20:                               ;   in Loop: Header=BB5_11 Depth=1
	s_delay_alu instid0(VALU_DEP_1)
	v_lshl_add_u64 v[18:19], v[12:13], 3, v[16:17]
	global_load_b64 v[18:19], v[18:19], off
	s_wait_loadcnt 0x0
	ds_store_b64 v27, v[18:19]
.LBB5_21:                               ;   in Loop: Header=BB5_11 Depth=1
	s_or_b32 exec_lo, exec_lo, s28
                                        ; implicit-def: $vgpr18_vgpr19
	s_and_saveexec_b32 s28, s2
; %bb.22:                               ;   in Loop: Header=BB5_11 Depth=1
	v_lshl_add_u64 v[18:19], v[14:15], 3, v[16:17]
	s_or_b32 s23, s23, exec_lo
; %bb.23:                               ;   in Loop: Header=BB5_11 Depth=1
	s_or_b32 exec_lo, exec_lo, s28
.LBB5_24:                               ;   in Loop: Header=BB5_11 Depth=1
	s_delay_alu instid0(SALU_CYCLE_1)
	s_and_b32 exec_lo, exec_lo, s23
	s_cbranch_execz .LBB5_26
; %bb.25:                               ;   in Loop: Header=BB5_11 Depth=1
	global_load_b64 v[16:17], v[18:19], off
	s_wait_loadcnt 0x0
	ds_store_b64 v27, v[16:17] offset:8192
.LBB5_26:                               ;   in Loop: Header=BB5_11 Depth=1
	s_or_b32 exec_lo, exec_lo, s27
	s_and_saveexec_b32 s23, s11
	s_cbranch_execz .LBB5_28
; %bb.27:                               ;   in Loop: Header=BB5_11 Depth=1
	v_mad_u32 v16, s16, s22, v24
	s_wait_kmcnt 0x0
	global_load_b64 v[16:17], v16, s[14:15] scale_offset
	s_wait_loadcnt 0x0
	ds_store_b64 v28, v[16:17]
.LBB5_28:                               ;   in Loop: Header=BB5_11 Depth=1
	s_or_b32 exec_lo, exec_lo, s23
	s_wait_dscnt 0x0
	s_barrier_signal -1
	s_barrier_wait -1
	s_and_saveexec_b32 s23, s4
	s_cbranch_execz .LBB5_10
; %bb.29:                               ;   in Loop: Header=BB5_11 Depth=1
	s_and_saveexec_b32 s27, s25
	s_cbranch_execz .LBB5_32
; %bb.30:                               ;   in Loop: Header=BB5_11 Depth=1
	v_dual_mov_b32 v16, v25 :: v_dual_mov_b32 v17, v23
	s_mov_b32 s28, s21
.LBB5_31:                               ;   Parent Loop BB5_11 Depth=1
                                        ; =>  This Inner Loop Header: Depth=2
	ds_load_b64 v[18:19], v16
	ds_load_b64 v[20:21], v17
	v_dual_add_nc_u32 v17, 8, v17 :: v_dual_add_nc_u32 v16, 8, v16
	s_add_co_i32 s28, s28, -1
	s_delay_alu instid0(SALU_CYCLE_1)
	s_cmp_lg_u32 s28, 0
	s_wait_dscnt 0x0
	v_fmac_f64_e32 v[0:1], v[18:19], v[20:21]
	s_cbranch_scc1 .LBB5_31
.LBB5_32:                               ;   in Loop: Header=BB5_11 Depth=1
	s_or_b32 exec_lo, exec_lo, s27
	s_and_saveexec_b32 s27, s26
	s_cbranch_execz .LBB5_9
; %bb.33:                               ;   in Loop: Header=BB5_11 Depth=1
	v_dual_mov_b32 v16, v25 :: v_dual_mov_b32 v17, v26
	s_mov_b32 s28, s21
.LBB5_34:                               ;   Parent Loop BB5_11 Depth=1
                                        ; =>  This Inner Loop Header: Depth=2
	ds_load_b64 v[18:19], v16
	ds_load_b64 v[20:21], v17
	v_dual_add_nc_u32 v17, 8, v17 :: v_dual_add_nc_u32 v16, 8, v16
	s_add_co_i32 s28, s28, -1
	s_delay_alu instid0(SALU_CYCLE_1)
	s_cmp_lg_u32 s28, 0
	s_wait_dscnt 0x0
	v_fmac_f64_e32 v[2:3], v[18:19], v[20:21]
	s_cbranch_scc1 .LBB5_34
	s_branch .LBB5_9
.LBB5_35:
	v_mov_b32_e32 v0, 0
	s_delay_alu instid0(VALU_DEP_1)
	v_dual_mov_b32 v1, v0 :: v_dual_mov_b32 v2, v0
	v_mov_b32_e32 v3, v0
.LBB5_36:
	s_load_b64 s[6:7], s[0:1], 0x50
	s_and_b32 s4, s24, s4
	s_delay_alu instid0(SALU_CYCLE_1)
	s_and_b32 exec_lo, exec_lo, s4
	s_cbranch_execz .LBB5_47
; %bb.37:
	v_mad_u32 v12, s20, s10, v22
	s_wait_xcnt 0x0
	s_load_b64 s[0:1], s[0:1], 0x58
	v_cmp_neq_f64_e32 vcc_lo, 0, v[6:7]
	s_delay_alu instid0(VALU_DEP_2) | instskip(SKIP_1) | instid1(VALU_DEP_1)
	v_ashrrev_i32_e32 v13, 31, v12
	s_wait_kmcnt 0x0
	v_lshl_add_u64 v[12:13], v[12:13], 3, s[6:7]
	s_and_saveexec_b32 s4, s3
	s_cbranch_execz .LBB5_42
; %bb.38:
	v_ashrrev_i32_e32 v11, 31, v10
	s_and_saveexec_b32 s3, vcc_lo
	s_delay_alu instid0(SALU_CYCLE_1)
	s_xor_b32 s3, exec_lo, s3
	s_cbranch_execz .LBB5_40
; %bb.39:
	s_delay_alu instid0(VALU_DEP_1) | instskip(SKIP_1) | instid1(VALU_DEP_2)
	v_mul_u64_e32 v[10:11], s[0:1], v[10:11]
	v_mul_f64_e32 v[16:17], v[4:5], v[0:1]
	v_lshl_add_u64 v[10:11], v[10:11], 3, v[12:13]
	global_load_b64 v[14:15], v[10:11], off
	s_wait_loadcnt 0x0
	v_fmac_f64_e32 v[16:17], v[6:7], v[14:15]
	global_store_b64 v[10:11], v[16:17], off
                                        ; implicit-def: $vgpr10
.LBB5_40:
	s_wait_xcnt 0x0
	s_and_not1_saveexec_b32 s3, s3
	s_cbranch_execz .LBB5_42
; %bb.41:
	v_mul_u64_e32 v[10:11], s[0:1], v[10:11]
	v_mul_f64_e32 v[0:1], v[4:5], v[0:1]
	s_delay_alu instid0(VALU_DEP_2)
	v_lshl_add_u64 v[10:11], v[10:11], 3, v[12:13]
	global_store_b64 v[10:11], v[0:1], off
.LBB5_42:
	s_wait_xcnt 0x0
	s_or_b32 exec_lo, exec_lo, s4
	s_delay_alu instid0(SALU_CYCLE_1)
	s_and_b32 exec_lo, exec_lo, s2
	s_cbranch_execz .LBB5_47
; %bb.43:
	v_ashrrev_i32_e32 v9, 31, v8
	s_and_saveexec_b32 s2, vcc_lo
	s_delay_alu instid0(SALU_CYCLE_1)
	s_xor_b32 s2, exec_lo, s2
	s_cbranch_execz .LBB5_45
; %bb.44:
	s_delay_alu instid0(VALU_DEP_1) | instskip(SKIP_1) | instid1(VALU_DEP_2)
	v_mul_u64_e32 v[0:1], s[0:1], v[8:9]
	v_mul_f64_e32 v[2:3], v[4:5], v[2:3]
                                        ; implicit-def: $vgpr4_vgpr5
	v_lshl_add_u64 v[0:1], v[0:1], 3, v[12:13]
                                        ; implicit-def: $vgpr12_vgpr13
	global_load_b64 v[8:9], v[0:1], off
	s_wait_loadcnt 0x0
	v_fmac_f64_e32 v[2:3], v[6:7], v[8:9]
                                        ; implicit-def: $vgpr8
	global_store_b64 v[0:1], v[2:3], off
                                        ; implicit-def: $vgpr0_vgpr1_vgpr2_vgpr3
.LBB5_45:
	s_wait_xcnt 0x0
	s_and_not1_saveexec_b32 s2, s2
	s_cbranch_execz .LBB5_47
; %bb.46:
	v_mul_u64_e32 v[0:1], s[0:1], v[8:9]
	v_mul_f64_e32 v[2:3], v[4:5], v[2:3]
	s_delay_alu instid0(VALU_DEP_2)
	v_lshl_add_u64 v[0:1], v[0:1], 3, v[12:13]
	global_store_b64 v[0:1], v[2:3], off
.LBB5_47:
	s_endpgm
	.section	.rodata,"a",@progbits
	.p2align	6, 0x0
	.amdhsa_kernel _ZN9rocsparseL33gebsrmm_large_blockdim_kernel_extILi32ELi32ELi2EdEEv20rocsparse_direction_20rocsparse_operation_iiNS_24const_host_device_scalarIT2_EEPKiS7_PKS4_iiS9_lS5_PS4_l21rocsparse_index_base_b
		.amdhsa_group_segment_fixed_size 24576
		.amdhsa_private_segment_fixed_size 0
		.amdhsa_kernarg_size 104
		.amdhsa_user_sgpr_count 2
		.amdhsa_user_sgpr_dispatch_ptr 0
		.amdhsa_user_sgpr_queue_ptr 0
		.amdhsa_user_sgpr_kernarg_segment_ptr 1
		.amdhsa_user_sgpr_dispatch_id 0
		.amdhsa_user_sgpr_kernarg_preload_length 0
		.amdhsa_user_sgpr_kernarg_preload_offset 0
		.amdhsa_user_sgpr_private_segment_size 0
		.amdhsa_wavefront_size32 1
		.amdhsa_uses_dynamic_stack 0
		.amdhsa_enable_private_segment 0
		.amdhsa_system_sgpr_workgroup_id_x 1
		.amdhsa_system_sgpr_workgroup_id_y 1
		.amdhsa_system_sgpr_workgroup_id_z 0
		.amdhsa_system_sgpr_workgroup_info 0
		.amdhsa_system_vgpr_workitem_id 1
		.amdhsa_next_free_vgpr 29
		.amdhsa_next_free_sgpr 30
		.amdhsa_named_barrier_count 0
		.amdhsa_reserve_vcc 1
		.amdhsa_float_round_mode_32 0
		.amdhsa_float_round_mode_16_64 0
		.amdhsa_float_denorm_mode_32 3
		.amdhsa_float_denorm_mode_16_64 3
		.amdhsa_fp16_overflow 0
		.amdhsa_memory_ordered 1
		.amdhsa_forward_progress 1
		.amdhsa_inst_pref_size 12
		.amdhsa_round_robin_scheduling 0
		.amdhsa_exception_fp_ieee_invalid_op 0
		.amdhsa_exception_fp_denorm_src 0
		.amdhsa_exception_fp_ieee_div_zero 0
		.amdhsa_exception_fp_ieee_overflow 0
		.amdhsa_exception_fp_ieee_underflow 0
		.amdhsa_exception_fp_ieee_inexact 0
		.amdhsa_exception_int_div_zero 0
	.end_amdhsa_kernel
	.section	.text._ZN9rocsparseL33gebsrmm_large_blockdim_kernel_extILi32ELi32ELi2EdEEv20rocsparse_direction_20rocsparse_operation_iiNS_24const_host_device_scalarIT2_EEPKiS7_PKS4_iiS9_lS5_PS4_l21rocsparse_index_base_b,"axG",@progbits,_ZN9rocsparseL33gebsrmm_large_blockdim_kernel_extILi32ELi32ELi2EdEEv20rocsparse_direction_20rocsparse_operation_iiNS_24const_host_device_scalarIT2_EEPKiS7_PKS4_iiS9_lS5_PS4_l21rocsparse_index_base_b,comdat
.Lfunc_end5:
	.size	_ZN9rocsparseL33gebsrmm_large_blockdim_kernel_extILi32ELi32ELi2EdEEv20rocsparse_direction_20rocsparse_operation_iiNS_24const_host_device_scalarIT2_EEPKiS7_PKS4_iiS9_lS5_PS4_l21rocsparse_index_base_b, .Lfunc_end5-_ZN9rocsparseL33gebsrmm_large_blockdim_kernel_extILi32ELi32ELi2EdEEv20rocsparse_direction_20rocsparse_operation_iiNS_24const_host_device_scalarIT2_EEPKiS7_PKS4_iiS9_lS5_PS4_l21rocsparse_index_base_b
                                        ; -- End function
	.set _ZN9rocsparseL33gebsrmm_large_blockdim_kernel_extILi32ELi32ELi2EdEEv20rocsparse_direction_20rocsparse_operation_iiNS_24const_host_device_scalarIT2_EEPKiS7_PKS4_iiS9_lS5_PS4_l21rocsparse_index_base_b.num_vgpr, 29
	.set _ZN9rocsparseL33gebsrmm_large_blockdim_kernel_extILi32ELi32ELi2EdEEv20rocsparse_direction_20rocsparse_operation_iiNS_24const_host_device_scalarIT2_EEPKiS7_PKS4_iiS9_lS5_PS4_l21rocsparse_index_base_b.num_agpr, 0
	.set _ZN9rocsparseL33gebsrmm_large_blockdim_kernel_extILi32ELi32ELi2EdEEv20rocsparse_direction_20rocsparse_operation_iiNS_24const_host_device_scalarIT2_EEPKiS7_PKS4_iiS9_lS5_PS4_l21rocsparse_index_base_b.numbered_sgpr, 30
	.set _ZN9rocsparseL33gebsrmm_large_blockdim_kernel_extILi32ELi32ELi2EdEEv20rocsparse_direction_20rocsparse_operation_iiNS_24const_host_device_scalarIT2_EEPKiS7_PKS4_iiS9_lS5_PS4_l21rocsparse_index_base_b.num_named_barrier, 0
	.set _ZN9rocsparseL33gebsrmm_large_blockdim_kernel_extILi32ELi32ELi2EdEEv20rocsparse_direction_20rocsparse_operation_iiNS_24const_host_device_scalarIT2_EEPKiS7_PKS4_iiS9_lS5_PS4_l21rocsparse_index_base_b.private_seg_size, 0
	.set _ZN9rocsparseL33gebsrmm_large_blockdim_kernel_extILi32ELi32ELi2EdEEv20rocsparse_direction_20rocsparse_operation_iiNS_24const_host_device_scalarIT2_EEPKiS7_PKS4_iiS9_lS5_PS4_l21rocsparse_index_base_b.uses_vcc, 1
	.set _ZN9rocsparseL33gebsrmm_large_blockdim_kernel_extILi32ELi32ELi2EdEEv20rocsparse_direction_20rocsparse_operation_iiNS_24const_host_device_scalarIT2_EEPKiS7_PKS4_iiS9_lS5_PS4_l21rocsparse_index_base_b.uses_flat_scratch, 0
	.set _ZN9rocsparseL33gebsrmm_large_blockdim_kernel_extILi32ELi32ELi2EdEEv20rocsparse_direction_20rocsparse_operation_iiNS_24const_host_device_scalarIT2_EEPKiS7_PKS4_iiS9_lS5_PS4_l21rocsparse_index_base_b.has_dyn_sized_stack, 0
	.set _ZN9rocsparseL33gebsrmm_large_blockdim_kernel_extILi32ELi32ELi2EdEEv20rocsparse_direction_20rocsparse_operation_iiNS_24const_host_device_scalarIT2_EEPKiS7_PKS4_iiS9_lS5_PS4_l21rocsparse_index_base_b.has_recursion, 0
	.set _ZN9rocsparseL33gebsrmm_large_blockdim_kernel_extILi32ELi32ELi2EdEEv20rocsparse_direction_20rocsparse_operation_iiNS_24const_host_device_scalarIT2_EEPKiS7_PKS4_iiS9_lS5_PS4_l21rocsparse_index_base_b.has_indirect_call, 0
	.section	.AMDGPU.csdata,"",@progbits
; Kernel info:
; codeLenInByte = 1480
; TotalNumSgprs: 32
; NumVgprs: 29
; ScratchSize: 0
; MemoryBound: 0
; FloatMode: 240
; IeeeMode: 1
; LDSByteSize: 24576 bytes/workgroup (compile time only)
; SGPRBlocks: 0
; VGPRBlocks: 1
; NumSGPRsForWavesPerEU: 32
; NumVGPRsForWavesPerEU: 29
; NamedBarCnt: 0
; Occupancy: 16
; WaveLimiterHint : 1
; COMPUTE_PGM_RSRC2:SCRATCH_EN: 0
; COMPUTE_PGM_RSRC2:USER_SGPR: 2
; COMPUTE_PGM_RSRC2:TRAP_HANDLER: 0
; COMPUTE_PGM_RSRC2:TGID_X_EN: 1
; COMPUTE_PGM_RSRC2:TGID_Y_EN: 1
; COMPUTE_PGM_RSRC2:TGID_Z_EN: 0
; COMPUTE_PGM_RSRC2:TIDIG_COMP_CNT: 1
	.section	.text._ZN9rocsparseL33gebsrmm_large_blockdim_kernel_extILi8ELi8ELi2E21rocsparse_complex_numIfEEEv20rocsparse_direction_20rocsparse_operation_iiNS_24const_host_device_scalarIT2_EEPKiS9_PKS6_iiSB_lS7_PS6_l21rocsparse_index_base_b,"axG",@progbits,_ZN9rocsparseL33gebsrmm_large_blockdim_kernel_extILi8ELi8ELi2E21rocsparse_complex_numIfEEEv20rocsparse_direction_20rocsparse_operation_iiNS_24const_host_device_scalarIT2_EEPKiS9_PKS6_iiSB_lS7_PS6_l21rocsparse_index_base_b,comdat
	.globl	_ZN9rocsparseL33gebsrmm_large_blockdim_kernel_extILi8ELi8ELi2E21rocsparse_complex_numIfEEEv20rocsparse_direction_20rocsparse_operation_iiNS_24const_host_device_scalarIT2_EEPKiS9_PKS6_iiSB_lS7_PS6_l21rocsparse_index_base_b ; -- Begin function _ZN9rocsparseL33gebsrmm_large_blockdim_kernel_extILi8ELi8ELi2E21rocsparse_complex_numIfEEEv20rocsparse_direction_20rocsparse_operation_iiNS_24const_host_device_scalarIT2_EEPKiS9_PKS6_iiSB_lS7_PS6_l21rocsparse_index_base_b
	.p2align	8
	.type	_ZN9rocsparseL33gebsrmm_large_blockdim_kernel_extILi8ELi8ELi2E21rocsparse_complex_numIfEEEv20rocsparse_direction_20rocsparse_operation_iiNS_24const_host_device_scalarIT2_EEPKiS9_PKS6_iiSB_lS7_PS6_l21rocsparse_index_base_b,@function
_ZN9rocsparseL33gebsrmm_large_blockdim_kernel_extILi8ELi8ELi2E21rocsparse_complex_numIfEEEv20rocsparse_direction_20rocsparse_operation_iiNS_24const_host_device_scalarIT2_EEPKiS9_PKS6_iiSB_lS7_PS6_l21rocsparse_index_base_b: ; @_ZN9rocsparseL33gebsrmm_large_blockdim_kernel_extILi8ELi8ELi2E21rocsparse_complex_numIfEEEv20rocsparse_direction_20rocsparse_operation_iiNS_24const_host_device_scalarIT2_EEPKiS9_PKS6_iiSB_lS7_PS6_l21rocsparse_index_base_b
; %bb.0:
	s_clause 0x2
	s_load_b64 s[20:21], s[0:1], 0x60
	s_load_b64 s[2:3], s[0:1], 0x10
	s_load_b128 s[8:11], s[0:1], 0x40
	v_mov_b32_e32 v1, 0
	s_add_nc_u64 s[4:5], s[0:1], 16
	s_add_nc_u64 s[6:7], s[0:1], 0x48
	s_mov_b32 s22, 0
	s_wait_kmcnt 0x0
	s_bitcmp1_b32 s21, 0
	s_cselect_b32 s3, s5, s3
	s_cselect_b32 s2, s4, s2
	;; [unrolled: 1-line block ×4, first 2 shown]
	s_clause 0x1
	flat_load_b64 v[2:3], v1, s[2:3]
	flat_load_b64 v[4:5], v1, s[4:5]
	s_wait_loadcnt_dscnt 0x101
	v_cmp_eq_f32_e32 vcc_lo, 0, v2
	v_cmp_eq_f32_e64 s2, 0, v3
	s_wait_loadcnt_dscnt 0x0
	v_cmp_eq_f32_e64 s4, 1.0, v4
	v_cmp_eq_f32_e64 s3, 0, v5
	s_and_b32 s2, vcc_lo, s2
	s_and_b32 s4, s4, s3
	s_delay_alu instid0(SALU_CYCLE_1) | instskip(NEXT) | instid1(SALU_CYCLE_1)
	s_and_b32 s2, s2, s4
	s_xor_b32 s2, s2, -1
	s_delay_alu instid0(SALU_CYCLE_1)
	s_and_saveexec_b32 s4, s2
	s_cbranch_execz .LBB6_43
; %bb.1:
	s_load_b128 s[16:19], s[0:1], 0x0
	s_bfe_u32 s2, ttmp6, 0x4000c
	s_and_b32 s4, ttmp6, 15
	s_add_co_i32 s2, s2, 1
	s_mov_b32 s7, 0
	s_mul_i32 s5, ttmp9, s2
	s_getreg_b32 s2, hwreg(HW_REG_IB_STS2, 6, 4)
	s_add_co_i32 s4, s4, s5
	s_cmp_eq_u32 s2, 0
	s_cselect_b32 s10, ttmp9, s4
	s_wait_kmcnt 0x0
	s_cmp_lt_i32 s10, s18
	s_cselect_b32 s21, -1, 0
	s_cmp_ge_i32 s10, s18
	s_cbranch_scc1 .LBB6_3
; %bb.2:
	s_load_b64 s[4:5], s[0:1], 0x18
	s_ashr_i32 s11, s10, 31
	s_delay_alu instid0(SALU_CYCLE_1)
	s_lshl_b64 s[6:7], s[10:11], 2
	s_wait_kmcnt 0x0
	s_add_nc_u64 s[4:5], s[4:5], s[6:7]
	s_load_b64 s[6:7], s[4:5], 0x0
	s_wait_kmcnt 0x0
	s_sub_co_i32 s22, s6, s20
	s_sub_co_i32 s7, s7, s20
.LBB6_3:
	s_bfe_u32 s4, ttmp6, 0x40010
	s_load_b64 s[24:25], s[0:1], 0x30
	s_add_co_i32 s4, s4, 1
	s_bfe_u32 s5, ttmp6, 0x40004
	s_mul_i32 s4, ttmp7, s4
	v_bfe_u32 v1, v0, 10, 10
	s_add_co_i32 s5, s5, s4
	s_cmp_eq_u32 s2, 0
	v_and_b32_e32 v22, 0x3ff, v0
	s_cselect_b32 s2, ttmp7, s5
	s_cmp_ge_i32 s22, s7
	v_lshl_add_u32 v8, s2, 4, v1
	s_delay_alu instid0(VALU_DEP_1) | instskip(SKIP_3) | instid1(VALU_DEP_3)
	v_add_nc_u32_e32 v6, 8, v8
	v_cmp_gt_i32_e64 s4, s19, v8
	s_wait_kmcnt 0x0
	v_cmp_gt_i32_e64 s5, s24, v22
	v_cmp_gt_i32_e64 s2, s19, v6
	s_cbranch_scc1 .LBB6_31
; %bb.4:
	v_dual_ashrrev_i32 v9, 31, v8 :: v_dual_ashrrev_i32 v7, 31, v6
	s_clause 0x1
	s_load_b128 s[12:15], s[0:1], 0x20
	s_load_b64 s[18:19], s[0:1], 0x38
	v_cmp_gt_i32_e32 vcc_lo, s25, v1
	v_mad_u32 v0, s24, v1, v22
	v_mul_u64_e32 v[12:13], s[8:9], v[8:9]
	v_mul_u64_e32 v[14:15], s[8:9], v[6:7]
	v_mad_u32 v10, s25, v22, v1
	s_and_b32 s11, s5, vcc_lo
	s_cmp_lg_u32 s17, 0x6f
	v_lshl_add_u32 v16, v1, 3, 0x400
	s_cselect_b32 s17, -1, 0
	s_cmp_eq_u32 s16, 0
	v_dual_lshlrev_b32 v23, 6, v1 :: v_dual_lshlrev_b32 v17, 6, v22
	v_lshlrev_b32_e32 v18, 3, v22
	s_cselect_b32 vcc_lo, -1, 0
	s_cmp_gt_i32 s25, 0
	s_delay_alu instid0(VALU_DEP_2)
	v_dual_cndmask_b32 v24, v0, v10 :: v_dual_add_nc_u32 v25, 0x400, v17
	v_mov_b64_e32 v[10:11], 0
	v_mov_b64_e32 v[0:1], 0
	v_cmp_gt_i32_e64 s6, s25, v22
	v_add_nc_u32_e32 v26, 0x200, v23
	v_dual_add_nc_u32 v28, v16, v17 :: v_dual_add_nc_u32 v27, v18, v23
	s_cselect_b32 s23, -1, 0
	s_mul_i32 s16, s25, s24
	s_and_b32 s26, s4, s23
	s_and_b32 s27, s2, s23
	s_branch .LBB6_7
.LBB6_5:                                ;   in Loop: Header=BB6_7 Depth=1
	s_or_b32 exec_lo, exec_lo, s28
.LBB6_6:                                ;   in Loop: Header=BB6_7 Depth=1
	s_delay_alu instid0(SALU_CYCLE_1) | instskip(SKIP_1) | instid1(SALU_CYCLE_1)
	s_or_b32 exec_lo, exec_lo, s23
	s_add_co_i32 s22, s22, 1
	s_cmp_ge_i32 s22, s7
	s_barrier_signal -1
	s_barrier_wait -1
	s_cbranch_scc1 .LBB6_32
.LBB6_7:                                ; =>This Loop Header: Depth=1
                                        ;     Child Loop BB6_27 Depth 2
                                        ;     Child Loop BB6_30 Depth 2
	s_and_saveexec_b32 s28, s6
	s_cbranch_execz .LBB6_22
; %bb.8:                                ;   in Loop: Header=BB6_7 Depth=1
	s_ashr_i32 s23, s22, 31
	s_and_not1_b32 vcc_lo, exec_lo, s17
	s_lshl_b64 s[30:31], s[22:23], 2
	s_wait_kmcnt 0x0
	s_add_nc_u64 s[30:31], s[12:13], s[30:31]
	s_load_b32 s23, s[30:31], 0x0
	s_wait_kmcnt 0x0
	s_sub_co_i32 s23, s23, s20
	s_delay_alu instid0(SALU_CYCLE_1) | instskip(NEXT) | instid1(VALU_DEP_1)
	v_mad_u32 v16, s23, s25, v22
	v_ashrrev_i32_e32 v17, 31, v16
	s_cbranch_vccnz .LBB6_14
; %bb.9:                                ;   in Loop: Header=BB6_7 Depth=1
	s_delay_alu instid0(VALU_DEP_1) | instskip(NEXT) | instid1(VALU_DEP_1)
	v_mul_u64_e32 v[18:19], s[8:9], v[16:17]
	v_lshl_add_u64 v[20:21], v[18:19], 3, s[18:19]
	s_and_saveexec_b32 s23, s4
	s_cbranch_execz .LBB6_11
; %bb.10:                               ;   in Loop: Header=BB6_7 Depth=1
	s_delay_alu instid0(VALU_DEP_1)
	v_lshl_add_u64 v[18:19], v[8:9], 3, v[20:21]
	global_load_b64 v[18:19], v[18:19], off
	s_wait_loadcnt 0x0
	ds_store_b64 v27, v[18:19]
.LBB6_11:                               ;   in Loop: Header=BB6_7 Depth=1
	s_or_b32 exec_lo, exec_lo, s23
	s_mov_b32 s29, 0
	s_mov_b32 s23, 0
                                        ; implicit-def: $vgpr18_vgpr19
	s_and_saveexec_b32 s30, s2
	s_delay_alu instid0(SALU_CYCLE_1)
	s_xor_b32 s30, exec_lo, s30
; %bb.12:                               ;   in Loop: Header=BB6_7 Depth=1
	v_lshl_add_u64 v[18:19], v[6:7], 3, v[20:21]
	s_mov_b32 s23, exec_lo
; %bb.13:                               ;   in Loop: Header=BB6_7 Depth=1
	s_or_b32 exec_lo, exec_lo, s30
	s_delay_alu instid0(SALU_CYCLE_1)
	s_and_b32 vcc_lo, exec_lo, s29
	s_cbranch_vccnz .LBB6_15
	s_branch .LBB6_20
.LBB6_14:                               ;   in Loop: Header=BB6_7 Depth=1
	s_mov_b32 s23, 0
                                        ; implicit-def: $vgpr18_vgpr19
	s_cbranch_execz .LBB6_20
.LBB6_15:                               ;   in Loop: Header=BB6_7 Depth=1
	s_delay_alu instid0(VALU_DEP_1)
	v_lshl_add_u64 v[16:17], v[16:17], 3, s[18:19]
	s_and_saveexec_b32 s29, s4
	s_cbranch_execz .LBB6_17
; %bb.16:                               ;   in Loop: Header=BB6_7 Depth=1
	s_delay_alu instid0(VALU_DEP_1)
	v_lshl_add_u64 v[18:19], v[12:13], 3, v[16:17]
	global_load_b64 v[18:19], v[18:19], off
	s_wait_loadcnt 0x0
	ds_store_b64 v27, v[18:19]
.LBB6_17:                               ;   in Loop: Header=BB6_7 Depth=1
	s_or_b32 exec_lo, exec_lo, s29
                                        ; implicit-def: $vgpr18_vgpr19
	s_and_saveexec_b32 s29, s2
; %bb.18:                               ;   in Loop: Header=BB6_7 Depth=1
	v_lshl_add_u64 v[18:19], v[14:15], 3, v[16:17]
	s_or_b32 s23, s23, exec_lo
; %bb.19:                               ;   in Loop: Header=BB6_7 Depth=1
	s_or_b32 exec_lo, exec_lo, s29
.LBB6_20:                               ;   in Loop: Header=BB6_7 Depth=1
	s_delay_alu instid0(SALU_CYCLE_1)
	s_and_b32 exec_lo, exec_lo, s23
	s_cbranch_execz .LBB6_22
; %bb.21:                               ;   in Loop: Header=BB6_7 Depth=1
	global_load_b64 v[16:17], v[18:19], off
	s_wait_loadcnt 0x0
	ds_store_b64 v27, v[16:17] offset:512
.LBB6_22:                               ;   in Loop: Header=BB6_7 Depth=1
	s_or_b32 exec_lo, exec_lo, s28
	s_and_saveexec_b32 s23, s11
	s_cbranch_execz .LBB6_24
; %bb.23:                               ;   in Loop: Header=BB6_7 Depth=1
	v_mad_u32 v16, s16, s22, v24
	s_wait_kmcnt 0x0
	global_load_b64 v[16:17], v16, s[14:15] scale_offset
	s_wait_loadcnt 0x0
	ds_store_b64 v28, v[16:17]
.LBB6_24:                               ;   in Loop: Header=BB6_7 Depth=1
	s_or_b32 exec_lo, exec_lo, s23
	s_wait_dscnt 0x0
	s_barrier_signal -1
	s_barrier_wait -1
	s_and_saveexec_b32 s23, s5
	s_cbranch_execz .LBB6_6
; %bb.25:                               ;   in Loop: Header=BB6_7 Depth=1
	s_and_saveexec_b32 s28, s26
	s_cbranch_execz .LBB6_28
; %bb.26:                               ;   in Loop: Header=BB6_7 Depth=1
	v_dual_mov_b32 v16, v25 :: v_dual_mov_b32 v17, v23
	s_mov_b32 s29, s25
.LBB6_27:                               ;   Parent Loop BB6_7 Depth=1
                                        ; =>  This Inner Loop Header: Depth=2
	ds_load_b64 v[18:19], v17
	ds_load_b64 v[20:21], v16
	v_dual_add_nc_u32 v17, 8, v17 :: v_dual_add_nc_u32 v16, 8, v16
	s_add_co_i32 s29, s29, -1
	s_delay_alu instid0(SALU_CYCLE_1) | instskip(SKIP_2) | instid1(VALU_DEP_1)
	s_cmp_lg_u32 s29, 0
	s_wait_dscnt 0x0
	v_pk_fma_f32 v[10:11], v[20:21], v[18:19], v[10:11] op_sel_hi:[1,0,1]
	v_pk_fma_f32 v[10:11], v[20:21], v[18:19], v[10:11] op_sel:[1,1,0] op_sel_hi:[0,1,1] neg_lo:[1,0,0]
	s_cbranch_scc1 .LBB6_27
.LBB6_28:                               ;   in Loop: Header=BB6_7 Depth=1
	s_or_b32 exec_lo, exec_lo, s28
	s_and_saveexec_b32 s28, s27
	s_cbranch_execz .LBB6_5
; %bb.29:                               ;   in Loop: Header=BB6_7 Depth=1
	v_dual_mov_b32 v16, v25 :: v_dual_mov_b32 v17, v26
	s_mov_b32 s29, s25
.LBB6_30:                               ;   Parent Loop BB6_7 Depth=1
                                        ; =>  This Inner Loop Header: Depth=2
	ds_load_b64 v[18:19], v17
	ds_load_b64 v[20:21], v16
	v_dual_add_nc_u32 v17, 8, v17 :: v_dual_add_nc_u32 v16, 8, v16
	s_add_co_i32 s29, s29, -1
	s_delay_alu instid0(SALU_CYCLE_1) | instskip(SKIP_2) | instid1(VALU_DEP_1)
	s_cmp_lg_u32 s29, 0
	s_wait_dscnt 0x0
	v_pk_fma_f32 v[0:1], v[20:21], v[18:19], v[0:1] op_sel_hi:[1,0,1]
	v_pk_fma_f32 v[0:1], v[20:21], v[18:19], v[0:1] op_sel:[1,1,0] op_sel_hi:[0,1,1] neg_lo:[1,0,0]
	s_cbranch_scc1 .LBB6_30
	s_branch .LBB6_5
.LBB6_31:
	v_mov_b64_e32 v[0:1], 0
	v_mov_b64_e32 v[10:11], 0
.LBB6_32:
	s_load_b64 s[6:7], s[0:1], 0x50
	s_and_b32 s5, s21, s5
	s_delay_alu instid0(SALU_CYCLE_1)
	s_and_b32 exec_lo, exec_lo, s5
	s_cbranch_execz .LBB6_43
; %bb.33:
	v_mad_u32 v12, s24, s10, v22
	s_wait_xcnt 0x0
	s_load_b64 s[0:1], s[0:1], 0x58
	v_cmp_neq_f32_e32 vcc_lo, 0, v4
	s_xor_b32 s3, s3, -1
	s_delay_alu instid0(SALU_CYCLE_1) | instskip(NEXT) | instid1(VALU_DEP_2)
	s_or_b32 s3, vcc_lo, s3
	v_ashrrev_i32_e32 v13, 31, v12
	s_wait_kmcnt 0x0
	s_delay_alu instid0(VALU_DEP_1)
	v_lshl_add_u64 v[12:13], v[12:13], 3, s[6:7]
	s_and_saveexec_b32 s5, s4
	s_cbranch_execz .LBB6_38
; %bb.34:
	v_ashrrev_i32_e32 v9, 31, v8
	s_and_saveexec_b32 s4, s3
	s_delay_alu instid0(SALU_CYCLE_1)
	s_xor_b32 s4, exec_lo, s4
	s_cbranch_execz .LBB6_36
; %bb.35:
	s_delay_alu instid0(VALU_DEP_1) | instskip(SKIP_2) | instid1(VALU_DEP_1)
	v_mul_u64_e32 v[8:9], s[0:1], v[8:9]
	v_xor_b32_e32 v16, 0x80000000, v3
	v_mov_b32_e32 v17, v2
	v_pk_mul_f32 v[16:17], v[10:11], v[16:17] op_sel:[1,0]
	s_delay_alu instid0(VALU_DEP_1)
	v_pk_fma_f32 v[10:11], v[2:3], v[10:11], v[16:17] op_sel_hi:[1,0,1]
	v_xor_b32_e32 v16, 0x80000000, v5
	v_mov_b32_e32 v17, v4
	v_lshl_add_u64 v[8:9], v[8:9], 3, v[12:13]
	global_load_b64 v[14:15], v[8:9], off
	s_wait_loadcnt 0x0
	v_pk_fma_f32 v[10:11], v[4:5], v[14:15], v[10:11] op_sel_hi:[1,0,1]
	s_delay_alu instid0(VALU_DEP_1)
	v_pk_fma_f32 v[10:11], v[16:17], v[14:15], v[10:11] op_sel:[0,1,0]
	global_store_b64 v[8:9], v[10:11], off
                                        ; implicit-def: $vgpr10_vgpr11
                                        ; implicit-def: $vgpr8
.LBB6_36:
	s_wait_xcnt 0x0
	s_and_not1_saveexec_b32 s4, s4
	s_cbranch_execz .LBB6_38
; %bb.37:
	v_mul_u64_e32 v[8:9], s[0:1], v[8:9]
	v_xor_b32_e32 v14, 0x80000000, v3
	v_mov_b32_e32 v15, v2
	s_delay_alu instid0(VALU_DEP_1) | instskip(NEXT) | instid1(VALU_DEP_1)
	v_pk_mul_f32 v[14:15], v[10:11], v[14:15] op_sel:[1,0]
	v_pk_fma_f32 v[10:11], v[2:3], v[10:11], v[14:15] op_sel_hi:[1,0,1]
	v_lshl_add_u64 v[8:9], v[8:9], 3, v[12:13]
	global_store_b64 v[8:9], v[10:11], off
.LBB6_38:
	s_wait_xcnt 0x0
	s_or_b32 exec_lo, exec_lo, s5
	s_delay_alu instid0(SALU_CYCLE_1)
	s_and_b32 exec_lo, exec_lo, s2
	s_cbranch_execz .LBB6_43
; %bb.39:
	v_ashrrev_i32_e32 v7, 31, v6
	v_xor_b32_e32 v8, 0x80000000, v3
	s_and_saveexec_b32 s2, s3
	s_delay_alu instid0(SALU_CYCLE_1)
	s_xor_b32 s2, exec_lo, s2
	s_cbranch_execz .LBB6_41
; %bb.40:
	v_mul_u64_e32 v[6:7], s[0:1], v[6:7]
	v_mov_b32_e32 v9, v2
	s_delay_alu instid0(VALU_DEP_1) | instskip(NEXT) | instid1(VALU_DEP_1)
	v_pk_mul_f32 v[8:9], v[0:1], v[8:9] op_sel:[1,0]
	v_pk_fma_f32 v[0:1], v[2:3], v[0:1], v[8:9] op_sel_hi:[1,0,1]
	v_xor_b32_e32 v2, 0x80000000, v5
	v_mov_b32_e32 v3, v4
                                        ; implicit-def: $vgpr8
	v_lshl_add_u64 v[6:7], v[6:7], 3, v[12:13]
                                        ; implicit-def: $vgpr12_vgpr13
	global_load_b64 v[10:11], v[6:7], off
	s_wait_loadcnt 0x0
	v_pk_fma_f32 v[0:1], v[4:5], v[10:11], v[0:1] op_sel_hi:[1,0,1]
	s_delay_alu instid0(VALU_DEP_1)
	v_pk_fma_f32 v[0:1], v[2:3], v[10:11], v[0:1] op_sel:[0,1,0]
                                        ; implicit-def: $vgpr2_vgpr3
	global_store_b64 v[6:7], v[0:1], off
                                        ; implicit-def: $vgpr0_vgpr1
                                        ; implicit-def: $vgpr6
.LBB6_41:
	s_wait_xcnt 0x0
	s_and_not1_saveexec_b32 s2, s2
	s_cbranch_execz .LBB6_43
; %bb.42:
	v_mul_u64_e32 v[4:5], s[0:1], v[6:7]
	v_mov_b32_e32 v9, v2
	s_delay_alu instid0(VALU_DEP_1) | instskip(NEXT) | instid1(VALU_DEP_1)
	v_pk_mul_f32 v[6:7], v[0:1], v[8:9] op_sel:[1,0]
	v_pk_fma_f32 v[0:1], v[2:3], v[0:1], v[6:7] op_sel_hi:[1,0,1]
	s_delay_alu instid0(VALU_DEP_4)
	v_lshl_add_u64 v[4:5], v[4:5], 3, v[12:13]
	global_store_b64 v[4:5], v[0:1], off
.LBB6_43:
	s_endpgm
	.section	.rodata,"a",@progbits
	.p2align	6, 0x0
	.amdhsa_kernel _ZN9rocsparseL33gebsrmm_large_blockdim_kernel_extILi8ELi8ELi2E21rocsparse_complex_numIfEEEv20rocsparse_direction_20rocsparse_operation_iiNS_24const_host_device_scalarIT2_EEPKiS9_PKS6_iiSB_lS7_PS6_l21rocsparse_index_base_b
		.amdhsa_group_segment_fixed_size 1536
		.amdhsa_private_segment_fixed_size 0
		.amdhsa_kernarg_size 104
		.amdhsa_user_sgpr_count 2
		.amdhsa_user_sgpr_dispatch_ptr 0
		.amdhsa_user_sgpr_queue_ptr 0
		.amdhsa_user_sgpr_kernarg_segment_ptr 1
		.amdhsa_user_sgpr_dispatch_id 0
		.amdhsa_user_sgpr_kernarg_preload_length 0
		.amdhsa_user_sgpr_kernarg_preload_offset 0
		.amdhsa_user_sgpr_private_segment_size 0
		.amdhsa_wavefront_size32 1
		.amdhsa_uses_dynamic_stack 0
		.amdhsa_enable_private_segment 0
		.amdhsa_system_sgpr_workgroup_id_x 1
		.amdhsa_system_sgpr_workgroup_id_y 1
		.amdhsa_system_sgpr_workgroup_id_z 0
		.amdhsa_system_sgpr_workgroup_info 0
		.amdhsa_system_vgpr_workitem_id 1
		.amdhsa_next_free_vgpr 29
		.amdhsa_next_free_sgpr 32
		.amdhsa_named_barrier_count 0
		.amdhsa_reserve_vcc 1
		.amdhsa_float_round_mode_32 0
		.amdhsa_float_round_mode_16_64 0
		.amdhsa_float_denorm_mode_32 3
		.amdhsa_float_denorm_mode_16_64 3
		.amdhsa_fp16_overflow 0
		.amdhsa_memory_ordered 1
		.amdhsa_forward_progress 1
		.amdhsa_inst_pref_size 14
		.amdhsa_round_robin_scheduling 0
		.amdhsa_exception_fp_ieee_invalid_op 0
		.amdhsa_exception_fp_denorm_src 0
		.amdhsa_exception_fp_ieee_div_zero 0
		.amdhsa_exception_fp_ieee_overflow 0
		.amdhsa_exception_fp_ieee_underflow 0
		.amdhsa_exception_fp_ieee_inexact 0
		.amdhsa_exception_int_div_zero 0
	.end_amdhsa_kernel
	.section	.text._ZN9rocsparseL33gebsrmm_large_blockdim_kernel_extILi8ELi8ELi2E21rocsparse_complex_numIfEEEv20rocsparse_direction_20rocsparse_operation_iiNS_24const_host_device_scalarIT2_EEPKiS9_PKS6_iiSB_lS7_PS6_l21rocsparse_index_base_b,"axG",@progbits,_ZN9rocsparseL33gebsrmm_large_blockdim_kernel_extILi8ELi8ELi2E21rocsparse_complex_numIfEEEv20rocsparse_direction_20rocsparse_operation_iiNS_24const_host_device_scalarIT2_EEPKiS9_PKS6_iiSB_lS7_PS6_l21rocsparse_index_base_b,comdat
.Lfunc_end6:
	.size	_ZN9rocsparseL33gebsrmm_large_blockdim_kernel_extILi8ELi8ELi2E21rocsparse_complex_numIfEEEv20rocsparse_direction_20rocsparse_operation_iiNS_24const_host_device_scalarIT2_EEPKiS9_PKS6_iiSB_lS7_PS6_l21rocsparse_index_base_b, .Lfunc_end6-_ZN9rocsparseL33gebsrmm_large_blockdim_kernel_extILi8ELi8ELi2E21rocsparse_complex_numIfEEEv20rocsparse_direction_20rocsparse_operation_iiNS_24const_host_device_scalarIT2_EEPKiS9_PKS6_iiSB_lS7_PS6_l21rocsparse_index_base_b
                                        ; -- End function
	.set _ZN9rocsparseL33gebsrmm_large_blockdim_kernel_extILi8ELi8ELi2E21rocsparse_complex_numIfEEEv20rocsparse_direction_20rocsparse_operation_iiNS_24const_host_device_scalarIT2_EEPKiS9_PKS6_iiSB_lS7_PS6_l21rocsparse_index_base_b.num_vgpr, 29
	.set _ZN9rocsparseL33gebsrmm_large_blockdim_kernel_extILi8ELi8ELi2E21rocsparse_complex_numIfEEEv20rocsparse_direction_20rocsparse_operation_iiNS_24const_host_device_scalarIT2_EEPKiS9_PKS6_iiSB_lS7_PS6_l21rocsparse_index_base_b.num_agpr, 0
	.set _ZN9rocsparseL33gebsrmm_large_blockdim_kernel_extILi8ELi8ELi2E21rocsparse_complex_numIfEEEv20rocsparse_direction_20rocsparse_operation_iiNS_24const_host_device_scalarIT2_EEPKiS9_PKS6_iiSB_lS7_PS6_l21rocsparse_index_base_b.numbered_sgpr, 32
	.set _ZN9rocsparseL33gebsrmm_large_blockdim_kernel_extILi8ELi8ELi2E21rocsparse_complex_numIfEEEv20rocsparse_direction_20rocsparse_operation_iiNS_24const_host_device_scalarIT2_EEPKiS9_PKS6_iiSB_lS7_PS6_l21rocsparse_index_base_b.num_named_barrier, 0
	.set _ZN9rocsparseL33gebsrmm_large_blockdim_kernel_extILi8ELi8ELi2E21rocsparse_complex_numIfEEEv20rocsparse_direction_20rocsparse_operation_iiNS_24const_host_device_scalarIT2_EEPKiS9_PKS6_iiSB_lS7_PS6_l21rocsparse_index_base_b.private_seg_size, 0
	.set _ZN9rocsparseL33gebsrmm_large_blockdim_kernel_extILi8ELi8ELi2E21rocsparse_complex_numIfEEEv20rocsparse_direction_20rocsparse_operation_iiNS_24const_host_device_scalarIT2_EEPKiS9_PKS6_iiSB_lS7_PS6_l21rocsparse_index_base_b.uses_vcc, 1
	.set _ZN9rocsparseL33gebsrmm_large_blockdim_kernel_extILi8ELi8ELi2E21rocsparse_complex_numIfEEEv20rocsparse_direction_20rocsparse_operation_iiNS_24const_host_device_scalarIT2_EEPKiS9_PKS6_iiSB_lS7_PS6_l21rocsparse_index_base_b.uses_flat_scratch, 1
	.set _ZN9rocsparseL33gebsrmm_large_blockdim_kernel_extILi8ELi8ELi2E21rocsparse_complex_numIfEEEv20rocsparse_direction_20rocsparse_operation_iiNS_24const_host_device_scalarIT2_EEPKiS9_PKS6_iiSB_lS7_PS6_l21rocsparse_index_base_b.has_dyn_sized_stack, 0
	.set _ZN9rocsparseL33gebsrmm_large_blockdim_kernel_extILi8ELi8ELi2E21rocsparse_complex_numIfEEEv20rocsparse_direction_20rocsparse_operation_iiNS_24const_host_device_scalarIT2_EEPKiS9_PKS6_iiSB_lS7_PS6_l21rocsparse_index_base_b.has_recursion, 0
	.set _ZN9rocsparseL33gebsrmm_large_blockdim_kernel_extILi8ELi8ELi2E21rocsparse_complex_numIfEEEv20rocsparse_direction_20rocsparse_operation_iiNS_24const_host_device_scalarIT2_EEPKiS9_PKS6_iiSB_lS7_PS6_l21rocsparse_index_base_b.has_indirect_call, 0
	.section	.AMDGPU.csdata,"",@progbits
; Kernel info:
; codeLenInByte = 1672
; TotalNumSgprs: 34
; NumVgprs: 29
; ScratchSize: 0
; MemoryBound: 0
; FloatMode: 240
; IeeeMode: 1
; LDSByteSize: 1536 bytes/workgroup (compile time only)
; SGPRBlocks: 0
; VGPRBlocks: 1
; NumSGPRsForWavesPerEU: 34
; NumVGPRsForWavesPerEU: 29
; NamedBarCnt: 0
; Occupancy: 16
; WaveLimiterHint : 1
; COMPUTE_PGM_RSRC2:SCRATCH_EN: 0
; COMPUTE_PGM_RSRC2:USER_SGPR: 2
; COMPUTE_PGM_RSRC2:TRAP_HANDLER: 0
; COMPUTE_PGM_RSRC2:TGID_X_EN: 1
; COMPUTE_PGM_RSRC2:TGID_Y_EN: 1
; COMPUTE_PGM_RSRC2:TGID_Z_EN: 0
; COMPUTE_PGM_RSRC2:TIDIG_COMP_CNT: 1
	.section	.text._ZN9rocsparseL33gebsrmm_large_blockdim_kernel_extILi16ELi16ELi2E21rocsparse_complex_numIfEEEv20rocsparse_direction_20rocsparse_operation_iiNS_24const_host_device_scalarIT2_EEPKiS9_PKS6_iiSB_lS7_PS6_l21rocsparse_index_base_b,"axG",@progbits,_ZN9rocsparseL33gebsrmm_large_blockdim_kernel_extILi16ELi16ELi2E21rocsparse_complex_numIfEEEv20rocsparse_direction_20rocsparse_operation_iiNS_24const_host_device_scalarIT2_EEPKiS9_PKS6_iiSB_lS7_PS6_l21rocsparse_index_base_b,comdat
	.globl	_ZN9rocsparseL33gebsrmm_large_blockdim_kernel_extILi16ELi16ELi2E21rocsparse_complex_numIfEEEv20rocsparse_direction_20rocsparse_operation_iiNS_24const_host_device_scalarIT2_EEPKiS9_PKS6_iiSB_lS7_PS6_l21rocsparse_index_base_b ; -- Begin function _ZN9rocsparseL33gebsrmm_large_blockdim_kernel_extILi16ELi16ELi2E21rocsparse_complex_numIfEEEv20rocsparse_direction_20rocsparse_operation_iiNS_24const_host_device_scalarIT2_EEPKiS9_PKS6_iiSB_lS7_PS6_l21rocsparse_index_base_b
	.p2align	8
	.type	_ZN9rocsparseL33gebsrmm_large_blockdim_kernel_extILi16ELi16ELi2E21rocsparse_complex_numIfEEEv20rocsparse_direction_20rocsparse_operation_iiNS_24const_host_device_scalarIT2_EEPKiS9_PKS6_iiSB_lS7_PS6_l21rocsparse_index_base_b,@function
_ZN9rocsparseL33gebsrmm_large_blockdim_kernel_extILi16ELi16ELi2E21rocsparse_complex_numIfEEEv20rocsparse_direction_20rocsparse_operation_iiNS_24const_host_device_scalarIT2_EEPKiS9_PKS6_iiSB_lS7_PS6_l21rocsparse_index_base_b: ; @_ZN9rocsparseL33gebsrmm_large_blockdim_kernel_extILi16ELi16ELi2E21rocsparse_complex_numIfEEEv20rocsparse_direction_20rocsparse_operation_iiNS_24const_host_device_scalarIT2_EEPKiS9_PKS6_iiSB_lS7_PS6_l21rocsparse_index_base_b
; %bb.0:
	s_clause 0x2
	s_load_b64 s[20:21], s[0:1], 0x60
	s_load_b64 s[2:3], s[0:1], 0x10
	s_load_b128 s[8:11], s[0:1], 0x40
	v_mov_b32_e32 v1, 0
	s_add_nc_u64 s[4:5], s[0:1], 16
	s_add_nc_u64 s[6:7], s[0:1], 0x48
	s_mov_b32 s22, 0
	s_wait_kmcnt 0x0
	s_bitcmp1_b32 s21, 0
	s_cselect_b32 s3, s5, s3
	s_cselect_b32 s2, s4, s2
	s_cselect_b32 s5, s7, s11
	s_cselect_b32 s4, s6, s10
	s_clause 0x1
	flat_load_b64 v[2:3], v1, s[2:3]
	flat_load_b64 v[4:5], v1, s[4:5]
	s_wait_loadcnt_dscnt 0x101
	v_cmp_eq_f32_e32 vcc_lo, 0, v2
	v_cmp_eq_f32_e64 s2, 0, v3
	s_wait_loadcnt_dscnt 0x0
	v_cmp_eq_f32_e64 s4, 1.0, v4
	v_cmp_eq_f32_e64 s3, 0, v5
	s_and_b32 s2, vcc_lo, s2
	s_and_b32 s4, s4, s3
	s_delay_alu instid0(SALU_CYCLE_1) | instskip(NEXT) | instid1(SALU_CYCLE_1)
	s_and_b32 s2, s2, s4
	s_xor_b32 s2, s2, -1
	s_delay_alu instid0(SALU_CYCLE_1)
	s_and_saveexec_b32 s4, s2
	s_cbranch_execz .LBB7_43
; %bb.1:
	s_load_b128 s[16:19], s[0:1], 0x0
	s_bfe_u32 s2, ttmp6, 0x4000c
	s_and_b32 s4, ttmp6, 15
	s_add_co_i32 s2, s2, 1
	s_mov_b32 s7, 0
	s_mul_i32 s5, ttmp9, s2
	s_getreg_b32 s2, hwreg(HW_REG_IB_STS2, 6, 4)
	s_add_co_i32 s4, s4, s5
	s_cmp_eq_u32 s2, 0
	s_cselect_b32 s10, ttmp9, s4
	s_wait_kmcnt 0x0
	s_cmp_lt_i32 s10, s18
	s_cselect_b32 s21, -1, 0
	s_cmp_ge_i32 s10, s18
	s_cbranch_scc1 .LBB7_3
; %bb.2:
	s_load_b64 s[4:5], s[0:1], 0x18
	s_ashr_i32 s11, s10, 31
	s_delay_alu instid0(SALU_CYCLE_1)
	s_lshl_b64 s[6:7], s[10:11], 2
	s_wait_kmcnt 0x0
	s_add_nc_u64 s[4:5], s[4:5], s[6:7]
	s_load_b64 s[6:7], s[4:5], 0x0
	s_wait_kmcnt 0x0
	s_sub_co_i32 s22, s6, s20
	s_sub_co_i32 s7, s7, s20
.LBB7_3:
	s_bfe_u32 s4, ttmp6, 0x40010
	s_load_b64 s[24:25], s[0:1], 0x30
	s_add_co_i32 s4, s4, 1
	s_bfe_u32 s5, ttmp6, 0x40004
	s_mul_i32 s4, ttmp7, s4
	v_bfe_u32 v1, v0, 10, 10
	s_add_co_i32 s5, s5, s4
	s_cmp_eq_u32 s2, 0
	v_and_b32_e32 v22, 0x3ff, v0
	s_cselect_b32 s2, ttmp7, s5
	s_cmp_ge_i32 s22, s7
	v_lshl_add_u32 v8, s2, 5, v1
	s_delay_alu instid0(VALU_DEP_1) | instskip(SKIP_3) | instid1(VALU_DEP_3)
	v_add_nc_u32_e32 v6, 16, v8
	v_cmp_gt_i32_e64 s4, s19, v8
	s_wait_kmcnt 0x0
	v_cmp_gt_i32_e64 s5, s24, v22
	v_cmp_gt_i32_e64 s2, s19, v6
	s_cbranch_scc1 .LBB7_31
; %bb.4:
	v_dual_ashrrev_i32 v9, 31, v8 :: v_dual_ashrrev_i32 v7, 31, v6
	s_clause 0x1
	s_load_b128 s[12:15], s[0:1], 0x20
	s_load_b64 s[18:19], s[0:1], 0x38
	v_cmp_gt_i32_e32 vcc_lo, s25, v1
	v_mad_u32 v0, s24, v1, v22
	v_mul_u64_e32 v[12:13], s[8:9], v[8:9]
	v_mul_u64_e32 v[14:15], s[8:9], v[6:7]
	v_mad_u32 v10, s25, v22, v1
	s_and_b32 s11, s5, vcc_lo
	s_cmp_lg_u32 s17, 0x6f
	v_lshl_add_u32 v16, v1, 3, 0x1000
	s_cselect_b32 s17, -1, 0
	s_cmp_eq_u32 s16, 0
	v_dual_lshlrev_b32 v23, 7, v1 :: v_dual_lshlrev_b32 v17, 7, v22
	v_lshlrev_b32_e32 v18, 3, v22
	s_cselect_b32 vcc_lo, -1, 0
	s_cmp_gt_i32 s25, 0
	s_delay_alu instid0(VALU_DEP_2)
	v_dual_cndmask_b32 v24, v0, v10 :: v_dual_add_nc_u32 v25, 0x1000, v17
	v_mov_b64_e32 v[10:11], 0
	v_mov_b64_e32 v[0:1], 0
	v_cmp_gt_i32_e64 s6, s25, v22
	v_add_nc_u32_e32 v26, 0x800, v23
	v_dual_add_nc_u32 v28, v16, v17 :: v_dual_add_nc_u32 v27, v18, v23
	s_cselect_b32 s23, -1, 0
	s_mul_i32 s16, s25, s24
	s_and_b32 s26, s4, s23
	s_and_b32 s27, s2, s23
	s_branch .LBB7_7
.LBB7_5:                                ;   in Loop: Header=BB7_7 Depth=1
	s_or_b32 exec_lo, exec_lo, s28
.LBB7_6:                                ;   in Loop: Header=BB7_7 Depth=1
	s_delay_alu instid0(SALU_CYCLE_1) | instskip(SKIP_1) | instid1(SALU_CYCLE_1)
	s_or_b32 exec_lo, exec_lo, s23
	s_add_co_i32 s22, s22, 1
	s_cmp_ge_i32 s22, s7
	s_barrier_signal -1
	s_barrier_wait -1
	s_cbranch_scc1 .LBB7_32
.LBB7_7:                                ; =>This Loop Header: Depth=1
                                        ;     Child Loop BB7_27 Depth 2
                                        ;     Child Loop BB7_30 Depth 2
	s_and_saveexec_b32 s28, s6
	s_cbranch_execz .LBB7_22
; %bb.8:                                ;   in Loop: Header=BB7_7 Depth=1
	s_ashr_i32 s23, s22, 31
	s_and_not1_b32 vcc_lo, exec_lo, s17
	s_lshl_b64 s[30:31], s[22:23], 2
	s_wait_kmcnt 0x0
	s_add_nc_u64 s[30:31], s[12:13], s[30:31]
	s_load_b32 s23, s[30:31], 0x0
	s_wait_kmcnt 0x0
	s_sub_co_i32 s23, s23, s20
	s_delay_alu instid0(SALU_CYCLE_1) | instskip(NEXT) | instid1(VALU_DEP_1)
	v_mad_u32 v16, s23, s25, v22
	v_ashrrev_i32_e32 v17, 31, v16
	s_cbranch_vccnz .LBB7_14
; %bb.9:                                ;   in Loop: Header=BB7_7 Depth=1
	s_delay_alu instid0(VALU_DEP_1) | instskip(NEXT) | instid1(VALU_DEP_1)
	v_mul_u64_e32 v[18:19], s[8:9], v[16:17]
	v_lshl_add_u64 v[20:21], v[18:19], 3, s[18:19]
	s_and_saveexec_b32 s23, s4
	s_cbranch_execz .LBB7_11
; %bb.10:                               ;   in Loop: Header=BB7_7 Depth=1
	s_delay_alu instid0(VALU_DEP_1)
	v_lshl_add_u64 v[18:19], v[8:9], 3, v[20:21]
	global_load_b64 v[18:19], v[18:19], off
	s_wait_loadcnt 0x0
	ds_store_b64 v27, v[18:19]
.LBB7_11:                               ;   in Loop: Header=BB7_7 Depth=1
	s_or_b32 exec_lo, exec_lo, s23
	s_mov_b32 s29, 0
	s_mov_b32 s23, 0
                                        ; implicit-def: $vgpr18_vgpr19
	s_and_saveexec_b32 s30, s2
	s_delay_alu instid0(SALU_CYCLE_1)
	s_xor_b32 s30, exec_lo, s30
; %bb.12:                               ;   in Loop: Header=BB7_7 Depth=1
	v_lshl_add_u64 v[18:19], v[6:7], 3, v[20:21]
	s_mov_b32 s23, exec_lo
; %bb.13:                               ;   in Loop: Header=BB7_7 Depth=1
	s_or_b32 exec_lo, exec_lo, s30
	s_delay_alu instid0(SALU_CYCLE_1)
	s_and_b32 vcc_lo, exec_lo, s29
	s_cbranch_vccnz .LBB7_15
	s_branch .LBB7_20
.LBB7_14:                               ;   in Loop: Header=BB7_7 Depth=1
	s_mov_b32 s23, 0
                                        ; implicit-def: $vgpr18_vgpr19
	s_cbranch_execz .LBB7_20
.LBB7_15:                               ;   in Loop: Header=BB7_7 Depth=1
	s_delay_alu instid0(VALU_DEP_1)
	v_lshl_add_u64 v[16:17], v[16:17], 3, s[18:19]
	s_and_saveexec_b32 s29, s4
	s_cbranch_execz .LBB7_17
; %bb.16:                               ;   in Loop: Header=BB7_7 Depth=1
	s_delay_alu instid0(VALU_DEP_1)
	v_lshl_add_u64 v[18:19], v[12:13], 3, v[16:17]
	global_load_b64 v[18:19], v[18:19], off
	s_wait_loadcnt 0x0
	ds_store_b64 v27, v[18:19]
.LBB7_17:                               ;   in Loop: Header=BB7_7 Depth=1
	s_or_b32 exec_lo, exec_lo, s29
                                        ; implicit-def: $vgpr18_vgpr19
	s_and_saveexec_b32 s29, s2
; %bb.18:                               ;   in Loop: Header=BB7_7 Depth=1
	v_lshl_add_u64 v[18:19], v[14:15], 3, v[16:17]
	s_or_b32 s23, s23, exec_lo
; %bb.19:                               ;   in Loop: Header=BB7_7 Depth=1
	s_or_b32 exec_lo, exec_lo, s29
.LBB7_20:                               ;   in Loop: Header=BB7_7 Depth=1
	s_delay_alu instid0(SALU_CYCLE_1)
	s_and_b32 exec_lo, exec_lo, s23
	s_cbranch_execz .LBB7_22
; %bb.21:                               ;   in Loop: Header=BB7_7 Depth=1
	global_load_b64 v[16:17], v[18:19], off
	s_wait_loadcnt 0x0
	ds_store_b64 v27, v[16:17] offset:2048
.LBB7_22:                               ;   in Loop: Header=BB7_7 Depth=1
	s_or_b32 exec_lo, exec_lo, s28
	s_and_saveexec_b32 s23, s11
	s_cbranch_execz .LBB7_24
; %bb.23:                               ;   in Loop: Header=BB7_7 Depth=1
	v_mad_u32 v16, s16, s22, v24
	s_wait_kmcnt 0x0
	global_load_b64 v[16:17], v16, s[14:15] scale_offset
	s_wait_loadcnt 0x0
	ds_store_b64 v28, v[16:17]
.LBB7_24:                               ;   in Loop: Header=BB7_7 Depth=1
	s_or_b32 exec_lo, exec_lo, s23
	s_wait_dscnt 0x0
	s_barrier_signal -1
	s_barrier_wait -1
	s_and_saveexec_b32 s23, s5
	s_cbranch_execz .LBB7_6
; %bb.25:                               ;   in Loop: Header=BB7_7 Depth=1
	s_and_saveexec_b32 s28, s26
	s_cbranch_execz .LBB7_28
; %bb.26:                               ;   in Loop: Header=BB7_7 Depth=1
	v_dual_mov_b32 v16, v25 :: v_dual_mov_b32 v17, v23
	s_mov_b32 s29, s25
.LBB7_27:                               ;   Parent Loop BB7_7 Depth=1
                                        ; =>  This Inner Loop Header: Depth=2
	ds_load_b64 v[18:19], v17
	ds_load_b64 v[20:21], v16
	v_dual_add_nc_u32 v17, 8, v17 :: v_dual_add_nc_u32 v16, 8, v16
	s_add_co_i32 s29, s29, -1
	s_delay_alu instid0(SALU_CYCLE_1) | instskip(SKIP_2) | instid1(VALU_DEP_1)
	s_cmp_lg_u32 s29, 0
	s_wait_dscnt 0x0
	v_pk_fma_f32 v[10:11], v[20:21], v[18:19], v[10:11] op_sel_hi:[1,0,1]
	v_pk_fma_f32 v[10:11], v[20:21], v[18:19], v[10:11] op_sel:[1,1,0] op_sel_hi:[0,1,1] neg_lo:[1,0,0]
	s_cbranch_scc1 .LBB7_27
.LBB7_28:                               ;   in Loop: Header=BB7_7 Depth=1
	s_or_b32 exec_lo, exec_lo, s28
	s_and_saveexec_b32 s28, s27
	s_cbranch_execz .LBB7_5
; %bb.29:                               ;   in Loop: Header=BB7_7 Depth=1
	v_dual_mov_b32 v16, v25 :: v_dual_mov_b32 v17, v26
	s_mov_b32 s29, s25
.LBB7_30:                               ;   Parent Loop BB7_7 Depth=1
                                        ; =>  This Inner Loop Header: Depth=2
	ds_load_b64 v[18:19], v17
	ds_load_b64 v[20:21], v16
	v_dual_add_nc_u32 v17, 8, v17 :: v_dual_add_nc_u32 v16, 8, v16
	s_add_co_i32 s29, s29, -1
	s_delay_alu instid0(SALU_CYCLE_1) | instskip(SKIP_2) | instid1(VALU_DEP_1)
	s_cmp_lg_u32 s29, 0
	s_wait_dscnt 0x0
	v_pk_fma_f32 v[0:1], v[20:21], v[18:19], v[0:1] op_sel_hi:[1,0,1]
	v_pk_fma_f32 v[0:1], v[20:21], v[18:19], v[0:1] op_sel:[1,1,0] op_sel_hi:[0,1,1] neg_lo:[1,0,0]
	s_cbranch_scc1 .LBB7_30
	s_branch .LBB7_5
.LBB7_31:
	v_mov_b64_e32 v[0:1], 0
	v_mov_b64_e32 v[10:11], 0
.LBB7_32:
	s_load_b64 s[6:7], s[0:1], 0x50
	s_and_b32 s5, s21, s5
	s_delay_alu instid0(SALU_CYCLE_1)
	s_and_b32 exec_lo, exec_lo, s5
	s_cbranch_execz .LBB7_43
; %bb.33:
	v_mad_u32 v12, s24, s10, v22
	s_wait_xcnt 0x0
	s_load_b64 s[0:1], s[0:1], 0x58
	v_cmp_neq_f32_e32 vcc_lo, 0, v4
	s_xor_b32 s3, s3, -1
	s_delay_alu instid0(SALU_CYCLE_1) | instskip(NEXT) | instid1(VALU_DEP_2)
	s_or_b32 s3, vcc_lo, s3
	v_ashrrev_i32_e32 v13, 31, v12
	s_wait_kmcnt 0x0
	s_delay_alu instid0(VALU_DEP_1)
	v_lshl_add_u64 v[12:13], v[12:13], 3, s[6:7]
	s_and_saveexec_b32 s5, s4
	s_cbranch_execz .LBB7_38
; %bb.34:
	v_ashrrev_i32_e32 v9, 31, v8
	s_and_saveexec_b32 s4, s3
	s_delay_alu instid0(SALU_CYCLE_1)
	s_xor_b32 s4, exec_lo, s4
	s_cbranch_execz .LBB7_36
; %bb.35:
	s_delay_alu instid0(VALU_DEP_1) | instskip(SKIP_2) | instid1(VALU_DEP_1)
	v_mul_u64_e32 v[8:9], s[0:1], v[8:9]
	v_xor_b32_e32 v16, 0x80000000, v3
	v_mov_b32_e32 v17, v2
	v_pk_mul_f32 v[16:17], v[10:11], v[16:17] op_sel:[1,0]
	s_delay_alu instid0(VALU_DEP_1)
	v_pk_fma_f32 v[10:11], v[2:3], v[10:11], v[16:17] op_sel_hi:[1,0,1]
	v_xor_b32_e32 v16, 0x80000000, v5
	v_mov_b32_e32 v17, v4
	v_lshl_add_u64 v[8:9], v[8:9], 3, v[12:13]
	global_load_b64 v[14:15], v[8:9], off
	s_wait_loadcnt 0x0
	v_pk_fma_f32 v[10:11], v[4:5], v[14:15], v[10:11] op_sel_hi:[1,0,1]
	s_delay_alu instid0(VALU_DEP_1)
	v_pk_fma_f32 v[10:11], v[16:17], v[14:15], v[10:11] op_sel:[0,1,0]
	global_store_b64 v[8:9], v[10:11], off
                                        ; implicit-def: $vgpr10_vgpr11
                                        ; implicit-def: $vgpr8
.LBB7_36:
	s_wait_xcnt 0x0
	s_and_not1_saveexec_b32 s4, s4
	s_cbranch_execz .LBB7_38
; %bb.37:
	v_mul_u64_e32 v[8:9], s[0:1], v[8:9]
	v_xor_b32_e32 v14, 0x80000000, v3
	v_mov_b32_e32 v15, v2
	s_delay_alu instid0(VALU_DEP_1) | instskip(NEXT) | instid1(VALU_DEP_1)
	v_pk_mul_f32 v[14:15], v[10:11], v[14:15] op_sel:[1,0]
	v_pk_fma_f32 v[10:11], v[2:3], v[10:11], v[14:15] op_sel_hi:[1,0,1]
	v_lshl_add_u64 v[8:9], v[8:9], 3, v[12:13]
	global_store_b64 v[8:9], v[10:11], off
.LBB7_38:
	s_wait_xcnt 0x0
	s_or_b32 exec_lo, exec_lo, s5
	s_delay_alu instid0(SALU_CYCLE_1)
	s_and_b32 exec_lo, exec_lo, s2
	s_cbranch_execz .LBB7_43
; %bb.39:
	v_ashrrev_i32_e32 v7, 31, v6
	v_xor_b32_e32 v8, 0x80000000, v3
	s_and_saveexec_b32 s2, s3
	s_delay_alu instid0(SALU_CYCLE_1)
	s_xor_b32 s2, exec_lo, s2
	s_cbranch_execz .LBB7_41
; %bb.40:
	v_mul_u64_e32 v[6:7], s[0:1], v[6:7]
	v_mov_b32_e32 v9, v2
	s_delay_alu instid0(VALU_DEP_1) | instskip(NEXT) | instid1(VALU_DEP_1)
	v_pk_mul_f32 v[8:9], v[0:1], v[8:9] op_sel:[1,0]
	v_pk_fma_f32 v[0:1], v[2:3], v[0:1], v[8:9] op_sel_hi:[1,0,1]
	v_xor_b32_e32 v2, 0x80000000, v5
	v_mov_b32_e32 v3, v4
                                        ; implicit-def: $vgpr8
	v_lshl_add_u64 v[6:7], v[6:7], 3, v[12:13]
                                        ; implicit-def: $vgpr12_vgpr13
	global_load_b64 v[10:11], v[6:7], off
	s_wait_loadcnt 0x0
	v_pk_fma_f32 v[0:1], v[4:5], v[10:11], v[0:1] op_sel_hi:[1,0,1]
	s_delay_alu instid0(VALU_DEP_1)
	v_pk_fma_f32 v[0:1], v[2:3], v[10:11], v[0:1] op_sel:[0,1,0]
                                        ; implicit-def: $vgpr2_vgpr3
	global_store_b64 v[6:7], v[0:1], off
                                        ; implicit-def: $vgpr0_vgpr1
                                        ; implicit-def: $vgpr6
.LBB7_41:
	s_wait_xcnt 0x0
	s_and_not1_saveexec_b32 s2, s2
	s_cbranch_execz .LBB7_43
; %bb.42:
	v_mul_u64_e32 v[4:5], s[0:1], v[6:7]
	v_mov_b32_e32 v9, v2
	s_delay_alu instid0(VALU_DEP_1) | instskip(NEXT) | instid1(VALU_DEP_1)
	v_pk_mul_f32 v[6:7], v[0:1], v[8:9] op_sel:[1,0]
	v_pk_fma_f32 v[0:1], v[2:3], v[0:1], v[6:7] op_sel_hi:[1,0,1]
	s_delay_alu instid0(VALU_DEP_4)
	v_lshl_add_u64 v[4:5], v[4:5], 3, v[12:13]
	global_store_b64 v[4:5], v[0:1], off
.LBB7_43:
	s_endpgm
	.section	.rodata,"a",@progbits
	.p2align	6, 0x0
	.amdhsa_kernel _ZN9rocsparseL33gebsrmm_large_blockdim_kernel_extILi16ELi16ELi2E21rocsparse_complex_numIfEEEv20rocsparse_direction_20rocsparse_operation_iiNS_24const_host_device_scalarIT2_EEPKiS9_PKS6_iiSB_lS7_PS6_l21rocsparse_index_base_b
		.amdhsa_group_segment_fixed_size 6144
		.amdhsa_private_segment_fixed_size 0
		.amdhsa_kernarg_size 104
		.amdhsa_user_sgpr_count 2
		.amdhsa_user_sgpr_dispatch_ptr 0
		.amdhsa_user_sgpr_queue_ptr 0
		.amdhsa_user_sgpr_kernarg_segment_ptr 1
		.amdhsa_user_sgpr_dispatch_id 0
		.amdhsa_user_sgpr_kernarg_preload_length 0
		.amdhsa_user_sgpr_kernarg_preload_offset 0
		.amdhsa_user_sgpr_private_segment_size 0
		.amdhsa_wavefront_size32 1
		.amdhsa_uses_dynamic_stack 0
		.amdhsa_enable_private_segment 0
		.amdhsa_system_sgpr_workgroup_id_x 1
		.amdhsa_system_sgpr_workgroup_id_y 1
		.amdhsa_system_sgpr_workgroup_id_z 0
		.amdhsa_system_sgpr_workgroup_info 0
		.amdhsa_system_vgpr_workitem_id 1
		.amdhsa_next_free_vgpr 29
		.amdhsa_next_free_sgpr 32
		.amdhsa_named_barrier_count 0
		.amdhsa_reserve_vcc 1
		.amdhsa_float_round_mode_32 0
		.amdhsa_float_round_mode_16_64 0
		.amdhsa_float_denorm_mode_32 3
		.amdhsa_float_denorm_mode_16_64 3
		.amdhsa_fp16_overflow 0
		.amdhsa_memory_ordered 1
		.amdhsa_forward_progress 1
		.amdhsa_inst_pref_size 14
		.amdhsa_round_robin_scheduling 0
		.amdhsa_exception_fp_ieee_invalid_op 0
		.amdhsa_exception_fp_denorm_src 0
		.amdhsa_exception_fp_ieee_div_zero 0
		.amdhsa_exception_fp_ieee_overflow 0
		.amdhsa_exception_fp_ieee_underflow 0
		.amdhsa_exception_fp_ieee_inexact 0
		.amdhsa_exception_int_div_zero 0
	.end_amdhsa_kernel
	.section	.text._ZN9rocsparseL33gebsrmm_large_blockdim_kernel_extILi16ELi16ELi2E21rocsparse_complex_numIfEEEv20rocsparse_direction_20rocsparse_operation_iiNS_24const_host_device_scalarIT2_EEPKiS9_PKS6_iiSB_lS7_PS6_l21rocsparse_index_base_b,"axG",@progbits,_ZN9rocsparseL33gebsrmm_large_blockdim_kernel_extILi16ELi16ELi2E21rocsparse_complex_numIfEEEv20rocsparse_direction_20rocsparse_operation_iiNS_24const_host_device_scalarIT2_EEPKiS9_PKS6_iiSB_lS7_PS6_l21rocsparse_index_base_b,comdat
.Lfunc_end7:
	.size	_ZN9rocsparseL33gebsrmm_large_blockdim_kernel_extILi16ELi16ELi2E21rocsparse_complex_numIfEEEv20rocsparse_direction_20rocsparse_operation_iiNS_24const_host_device_scalarIT2_EEPKiS9_PKS6_iiSB_lS7_PS6_l21rocsparse_index_base_b, .Lfunc_end7-_ZN9rocsparseL33gebsrmm_large_blockdim_kernel_extILi16ELi16ELi2E21rocsparse_complex_numIfEEEv20rocsparse_direction_20rocsparse_operation_iiNS_24const_host_device_scalarIT2_EEPKiS9_PKS6_iiSB_lS7_PS6_l21rocsparse_index_base_b
                                        ; -- End function
	.set _ZN9rocsparseL33gebsrmm_large_blockdim_kernel_extILi16ELi16ELi2E21rocsparse_complex_numIfEEEv20rocsparse_direction_20rocsparse_operation_iiNS_24const_host_device_scalarIT2_EEPKiS9_PKS6_iiSB_lS7_PS6_l21rocsparse_index_base_b.num_vgpr, 29
	.set _ZN9rocsparseL33gebsrmm_large_blockdim_kernel_extILi16ELi16ELi2E21rocsparse_complex_numIfEEEv20rocsparse_direction_20rocsparse_operation_iiNS_24const_host_device_scalarIT2_EEPKiS9_PKS6_iiSB_lS7_PS6_l21rocsparse_index_base_b.num_agpr, 0
	.set _ZN9rocsparseL33gebsrmm_large_blockdim_kernel_extILi16ELi16ELi2E21rocsparse_complex_numIfEEEv20rocsparse_direction_20rocsparse_operation_iiNS_24const_host_device_scalarIT2_EEPKiS9_PKS6_iiSB_lS7_PS6_l21rocsparse_index_base_b.numbered_sgpr, 32
	.set _ZN9rocsparseL33gebsrmm_large_blockdim_kernel_extILi16ELi16ELi2E21rocsparse_complex_numIfEEEv20rocsparse_direction_20rocsparse_operation_iiNS_24const_host_device_scalarIT2_EEPKiS9_PKS6_iiSB_lS7_PS6_l21rocsparse_index_base_b.num_named_barrier, 0
	.set _ZN9rocsparseL33gebsrmm_large_blockdim_kernel_extILi16ELi16ELi2E21rocsparse_complex_numIfEEEv20rocsparse_direction_20rocsparse_operation_iiNS_24const_host_device_scalarIT2_EEPKiS9_PKS6_iiSB_lS7_PS6_l21rocsparse_index_base_b.private_seg_size, 0
	.set _ZN9rocsparseL33gebsrmm_large_blockdim_kernel_extILi16ELi16ELi2E21rocsparse_complex_numIfEEEv20rocsparse_direction_20rocsparse_operation_iiNS_24const_host_device_scalarIT2_EEPKiS9_PKS6_iiSB_lS7_PS6_l21rocsparse_index_base_b.uses_vcc, 1
	.set _ZN9rocsparseL33gebsrmm_large_blockdim_kernel_extILi16ELi16ELi2E21rocsparse_complex_numIfEEEv20rocsparse_direction_20rocsparse_operation_iiNS_24const_host_device_scalarIT2_EEPKiS9_PKS6_iiSB_lS7_PS6_l21rocsparse_index_base_b.uses_flat_scratch, 1
	.set _ZN9rocsparseL33gebsrmm_large_blockdim_kernel_extILi16ELi16ELi2E21rocsparse_complex_numIfEEEv20rocsparse_direction_20rocsparse_operation_iiNS_24const_host_device_scalarIT2_EEPKiS9_PKS6_iiSB_lS7_PS6_l21rocsparse_index_base_b.has_dyn_sized_stack, 0
	.set _ZN9rocsparseL33gebsrmm_large_blockdim_kernel_extILi16ELi16ELi2E21rocsparse_complex_numIfEEEv20rocsparse_direction_20rocsparse_operation_iiNS_24const_host_device_scalarIT2_EEPKiS9_PKS6_iiSB_lS7_PS6_l21rocsparse_index_base_b.has_recursion, 0
	.set _ZN9rocsparseL33gebsrmm_large_blockdim_kernel_extILi16ELi16ELi2E21rocsparse_complex_numIfEEEv20rocsparse_direction_20rocsparse_operation_iiNS_24const_host_device_scalarIT2_EEPKiS9_PKS6_iiSB_lS7_PS6_l21rocsparse_index_base_b.has_indirect_call, 0
	.section	.AMDGPU.csdata,"",@progbits
; Kernel info:
; codeLenInByte = 1672
; TotalNumSgprs: 34
; NumVgprs: 29
; ScratchSize: 0
; MemoryBound: 0
; FloatMode: 240
; IeeeMode: 1
; LDSByteSize: 6144 bytes/workgroup (compile time only)
; SGPRBlocks: 0
; VGPRBlocks: 1
; NumSGPRsForWavesPerEU: 34
; NumVGPRsForWavesPerEU: 29
; NamedBarCnt: 0
; Occupancy: 16
; WaveLimiterHint : 1
; COMPUTE_PGM_RSRC2:SCRATCH_EN: 0
; COMPUTE_PGM_RSRC2:USER_SGPR: 2
; COMPUTE_PGM_RSRC2:TRAP_HANDLER: 0
; COMPUTE_PGM_RSRC2:TGID_X_EN: 1
; COMPUTE_PGM_RSRC2:TGID_Y_EN: 1
; COMPUTE_PGM_RSRC2:TGID_Z_EN: 0
; COMPUTE_PGM_RSRC2:TIDIG_COMP_CNT: 1
	.section	.text._ZN9rocsparseL33gebsrmm_large_blockdim_kernel_extILi32ELi32ELi2E21rocsparse_complex_numIfEEEv20rocsparse_direction_20rocsparse_operation_iiNS_24const_host_device_scalarIT2_EEPKiS9_PKS6_iiSB_lS7_PS6_l21rocsparse_index_base_b,"axG",@progbits,_ZN9rocsparseL33gebsrmm_large_blockdim_kernel_extILi32ELi32ELi2E21rocsparse_complex_numIfEEEv20rocsparse_direction_20rocsparse_operation_iiNS_24const_host_device_scalarIT2_EEPKiS9_PKS6_iiSB_lS7_PS6_l21rocsparse_index_base_b,comdat
	.globl	_ZN9rocsparseL33gebsrmm_large_blockdim_kernel_extILi32ELi32ELi2E21rocsparse_complex_numIfEEEv20rocsparse_direction_20rocsparse_operation_iiNS_24const_host_device_scalarIT2_EEPKiS9_PKS6_iiSB_lS7_PS6_l21rocsparse_index_base_b ; -- Begin function _ZN9rocsparseL33gebsrmm_large_blockdim_kernel_extILi32ELi32ELi2E21rocsparse_complex_numIfEEEv20rocsparse_direction_20rocsparse_operation_iiNS_24const_host_device_scalarIT2_EEPKiS9_PKS6_iiSB_lS7_PS6_l21rocsparse_index_base_b
	.p2align	8
	.type	_ZN9rocsparseL33gebsrmm_large_blockdim_kernel_extILi32ELi32ELi2E21rocsparse_complex_numIfEEEv20rocsparse_direction_20rocsparse_operation_iiNS_24const_host_device_scalarIT2_EEPKiS9_PKS6_iiSB_lS7_PS6_l21rocsparse_index_base_b,@function
_ZN9rocsparseL33gebsrmm_large_blockdim_kernel_extILi32ELi32ELi2E21rocsparse_complex_numIfEEEv20rocsparse_direction_20rocsparse_operation_iiNS_24const_host_device_scalarIT2_EEPKiS9_PKS6_iiSB_lS7_PS6_l21rocsparse_index_base_b: ; @_ZN9rocsparseL33gebsrmm_large_blockdim_kernel_extILi32ELi32ELi2E21rocsparse_complex_numIfEEEv20rocsparse_direction_20rocsparse_operation_iiNS_24const_host_device_scalarIT2_EEPKiS9_PKS6_iiSB_lS7_PS6_l21rocsparse_index_base_b
; %bb.0:
	s_clause 0x2
	s_load_b64 s[20:21], s[0:1], 0x60
	s_load_b64 s[2:3], s[0:1], 0x10
	s_load_b128 s[8:11], s[0:1], 0x40
	v_mov_b32_e32 v1, 0
	s_add_nc_u64 s[4:5], s[0:1], 16
	s_add_nc_u64 s[6:7], s[0:1], 0x48
	s_mov_b32 s22, 0
	s_wait_kmcnt 0x0
	s_bitcmp1_b32 s21, 0
	s_cselect_b32 s3, s5, s3
	s_cselect_b32 s2, s4, s2
	;; [unrolled: 1-line block ×4, first 2 shown]
	s_clause 0x1
	flat_load_b64 v[2:3], v1, s[2:3]
	flat_load_b64 v[4:5], v1, s[4:5]
	s_wait_loadcnt_dscnt 0x101
	v_cmp_eq_f32_e32 vcc_lo, 0, v2
	v_cmp_eq_f32_e64 s2, 0, v3
	s_wait_loadcnt_dscnt 0x0
	v_cmp_eq_f32_e64 s4, 1.0, v4
	v_cmp_eq_f32_e64 s3, 0, v5
	s_and_b32 s2, vcc_lo, s2
	s_and_b32 s4, s4, s3
	s_delay_alu instid0(SALU_CYCLE_1) | instskip(NEXT) | instid1(SALU_CYCLE_1)
	s_and_b32 s2, s2, s4
	s_xor_b32 s2, s2, -1
	s_delay_alu instid0(SALU_CYCLE_1)
	s_and_saveexec_b32 s4, s2
	s_cbranch_execz .LBB8_43
; %bb.1:
	s_load_b128 s[16:19], s[0:1], 0x0
	s_bfe_u32 s2, ttmp6, 0x4000c
	s_and_b32 s4, ttmp6, 15
	s_add_co_i32 s2, s2, 1
	s_mov_b32 s7, 0
	s_mul_i32 s5, ttmp9, s2
	s_getreg_b32 s2, hwreg(HW_REG_IB_STS2, 6, 4)
	s_add_co_i32 s4, s4, s5
	s_cmp_eq_u32 s2, 0
	s_cselect_b32 s10, ttmp9, s4
	s_wait_kmcnt 0x0
	s_cmp_lt_i32 s10, s18
	s_cselect_b32 s21, -1, 0
	s_cmp_ge_i32 s10, s18
	s_cbranch_scc1 .LBB8_3
; %bb.2:
	s_load_b64 s[4:5], s[0:1], 0x18
	s_ashr_i32 s11, s10, 31
	s_delay_alu instid0(SALU_CYCLE_1)
	s_lshl_b64 s[6:7], s[10:11], 2
	s_wait_kmcnt 0x0
	s_add_nc_u64 s[4:5], s[4:5], s[6:7]
	s_load_b64 s[6:7], s[4:5], 0x0
	s_wait_kmcnt 0x0
	s_sub_co_i32 s22, s6, s20
	s_sub_co_i32 s7, s7, s20
.LBB8_3:
	s_bfe_u32 s4, ttmp6, 0x40010
	s_load_b64 s[24:25], s[0:1], 0x30
	s_add_co_i32 s4, s4, 1
	s_bfe_u32 s5, ttmp6, 0x40004
	s_mul_i32 s4, ttmp7, s4
	v_bfe_u32 v1, v0, 10, 10
	s_add_co_i32 s5, s5, s4
	s_cmp_eq_u32 s2, 0
	v_and_b32_e32 v22, 0x3ff, v0
	s_cselect_b32 s2, ttmp7, s5
	s_cmp_ge_i32 s22, s7
	v_lshl_add_u32 v8, s2, 6, v1
	s_delay_alu instid0(VALU_DEP_1) | instskip(SKIP_3) | instid1(VALU_DEP_3)
	v_add_nc_u32_e32 v6, 32, v8
	v_cmp_gt_i32_e64 s4, s19, v8
	s_wait_kmcnt 0x0
	v_cmp_gt_i32_e64 s5, s24, v22
	v_cmp_gt_i32_e64 s2, s19, v6
	s_cbranch_scc1 .LBB8_31
; %bb.4:
	v_dual_ashrrev_i32 v9, 31, v8 :: v_dual_ashrrev_i32 v7, 31, v6
	s_clause 0x1
	s_load_b128 s[12:15], s[0:1], 0x20
	s_load_b64 s[18:19], s[0:1], 0x38
	v_cmp_gt_i32_e32 vcc_lo, s25, v1
	v_mad_u32 v0, s24, v1, v22
	v_mul_u64_e32 v[12:13], s[8:9], v[8:9]
	v_mul_u64_e32 v[14:15], s[8:9], v[6:7]
	v_mad_u32 v10, s25, v22, v1
	s_and_b32 s11, s5, vcc_lo
	s_cmp_lg_u32 s17, 0x6f
	v_lshl_or_b32 v16, v1, 3, 0x4000
	s_cselect_b32 s17, -1, 0
	s_cmp_eq_u32 s16, 0
	v_dual_lshlrev_b32 v23, 8, v1 :: v_dual_lshlrev_b32 v17, 8, v22
	v_lshlrev_b32_e32 v18, 3, v22
	s_cselect_b32 vcc_lo, -1, 0
	s_cmp_gt_i32 s25, 0
	s_delay_alu instid0(VALU_DEP_2)
	v_dual_cndmask_b32 v24, v0, v10 :: v_dual_add_nc_u32 v25, 0x4000, v17
	v_mov_b64_e32 v[10:11], 0
	v_mov_b64_e32 v[0:1], 0
	v_cmp_gt_i32_e64 s6, s25, v22
	v_add_nc_u32_e32 v26, 0x2000, v23
	v_dual_add_nc_u32 v28, v16, v17 :: v_dual_add_nc_u32 v27, v18, v23
	s_cselect_b32 s23, -1, 0
	s_mul_i32 s16, s25, s24
	s_and_b32 s26, s4, s23
	s_and_b32 s27, s2, s23
	s_branch .LBB8_7
.LBB8_5:                                ;   in Loop: Header=BB8_7 Depth=1
	s_or_b32 exec_lo, exec_lo, s28
.LBB8_6:                                ;   in Loop: Header=BB8_7 Depth=1
	s_delay_alu instid0(SALU_CYCLE_1) | instskip(SKIP_1) | instid1(SALU_CYCLE_1)
	s_or_b32 exec_lo, exec_lo, s23
	s_add_co_i32 s22, s22, 1
	s_cmp_ge_i32 s22, s7
	s_barrier_signal -1
	s_barrier_wait -1
	s_cbranch_scc1 .LBB8_32
.LBB8_7:                                ; =>This Loop Header: Depth=1
                                        ;     Child Loop BB8_27 Depth 2
                                        ;     Child Loop BB8_30 Depth 2
	s_and_saveexec_b32 s28, s6
	s_cbranch_execz .LBB8_22
; %bb.8:                                ;   in Loop: Header=BB8_7 Depth=1
	s_ashr_i32 s23, s22, 31
	s_and_not1_b32 vcc_lo, exec_lo, s17
	s_lshl_b64 s[30:31], s[22:23], 2
	s_wait_kmcnt 0x0
	s_add_nc_u64 s[30:31], s[12:13], s[30:31]
	s_load_b32 s23, s[30:31], 0x0
	s_wait_kmcnt 0x0
	s_sub_co_i32 s23, s23, s20
	s_delay_alu instid0(SALU_CYCLE_1) | instskip(NEXT) | instid1(VALU_DEP_1)
	v_mad_u32 v16, s23, s25, v22
	v_ashrrev_i32_e32 v17, 31, v16
	s_cbranch_vccnz .LBB8_14
; %bb.9:                                ;   in Loop: Header=BB8_7 Depth=1
	s_delay_alu instid0(VALU_DEP_1) | instskip(NEXT) | instid1(VALU_DEP_1)
	v_mul_u64_e32 v[18:19], s[8:9], v[16:17]
	v_lshl_add_u64 v[20:21], v[18:19], 3, s[18:19]
	s_and_saveexec_b32 s23, s4
	s_cbranch_execz .LBB8_11
; %bb.10:                               ;   in Loop: Header=BB8_7 Depth=1
	s_delay_alu instid0(VALU_DEP_1)
	v_lshl_add_u64 v[18:19], v[8:9], 3, v[20:21]
	global_load_b64 v[18:19], v[18:19], off
	s_wait_loadcnt 0x0
	ds_store_b64 v27, v[18:19]
.LBB8_11:                               ;   in Loop: Header=BB8_7 Depth=1
	s_or_b32 exec_lo, exec_lo, s23
	s_mov_b32 s29, 0
	s_mov_b32 s23, 0
                                        ; implicit-def: $vgpr18_vgpr19
	s_and_saveexec_b32 s30, s2
	s_delay_alu instid0(SALU_CYCLE_1)
	s_xor_b32 s30, exec_lo, s30
; %bb.12:                               ;   in Loop: Header=BB8_7 Depth=1
	v_lshl_add_u64 v[18:19], v[6:7], 3, v[20:21]
	s_mov_b32 s23, exec_lo
; %bb.13:                               ;   in Loop: Header=BB8_7 Depth=1
	s_or_b32 exec_lo, exec_lo, s30
	s_delay_alu instid0(SALU_CYCLE_1)
	s_and_b32 vcc_lo, exec_lo, s29
	s_cbranch_vccnz .LBB8_15
	s_branch .LBB8_20
.LBB8_14:                               ;   in Loop: Header=BB8_7 Depth=1
	s_mov_b32 s23, 0
                                        ; implicit-def: $vgpr18_vgpr19
	s_cbranch_execz .LBB8_20
.LBB8_15:                               ;   in Loop: Header=BB8_7 Depth=1
	s_delay_alu instid0(VALU_DEP_1)
	v_lshl_add_u64 v[16:17], v[16:17], 3, s[18:19]
	s_and_saveexec_b32 s29, s4
	s_cbranch_execz .LBB8_17
; %bb.16:                               ;   in Loop: Header=BB8_7 Depth=1
	s_delay_alu instid0(VALU_DEP_1)
	v_lshl_add_u64 v[18:19], v[12:13], 3, v[16:17]
	global_load_b64 v[18:19], v[18:19], off
	s_wait_loadcnt 0x0
	ds_store_b64 v27, v[18:19]
.LBB8_17:                               ;   in Loop: Header=BB8_7 Depth=1
	s_or_b32 exec_lo, exec_lo, s29
                                        ; implicit-def: $vgpr18_vgpr19
	s_and_saveexec_b32 s29, s2
; %bb.18:                               ;   in Loop: Header=BB8_7 Depth=1
	v_lshl_add_u64 v[18:19], v[14:15], 3, v[16:17]
	s_or_b32 s23, s23, exec_lo
; %bb.19:                               ;   in Loop: Header=BB8_7 Depth=1
	s_or_b32 exec_lo, exec_lo, s29
.LBB8_20:                               ;   in Loop: Header=BB8_7 Depth=1
	s_delay_alu instid0(SALU_CYCLE_1)
	s_and_b32 exec_lo, exec_lo, s23
	s_cbranch_execz .LBB8_22
; %bb.21:                               ;   in Loop: Header=BB8_7 Depth=1
	global_load_b64 v[16:17], v[18:19], off
	s_wait_loadcnt 0x0
	ds_store_b64 v27, v[16:17] offset:8192
.LBB8_22:                               ;   in Loop: Header=BB8_7 Depth=1
	s_or_b32 exec_lo, exec_lo, s28
	s_and_saveexec_b32 s23, s11
	s_cbranch_execz .LBB8_24
; %bb.23:                               ;   in Loop: Header=BB8_7 Depth=1
	v_mad_u32 v16, s16, s22, v24
	s_wait_kmcnt 0x0
	global_load_b64 v[16:17], v16, s[14:15] scale_offset
	s_wait_loadcnt 0x0
	ds_store_b64 v28, v[16:17]
.LBB8_24:                               ;   in Loop: Header=BB8_7 Depth=1
	s_or_b32 exec_lo, exec_lo, s23
	s_wait_dscnt 0x0
	s_barrier_signal -1
	s_barrier_wait -1
	s_and_saveexec_b32 s23, s5
	s_cbranch_execz .LBB8_6
; %bb.25:                               ;   in Loop: Header=BB8_7 Depth=1
	s_and_saveexec_b32 s28, s26
	s_cbranch_execz .LBB8_28
; %bb.26:                               ;   in Loop: Header=BB8_7 Depth=1
	v_dual_mov_b32 v16, v25 :: v_dual_mov_b32 v17, v23
	s_mov_b32 s29, s25
.LBB8_27:                               ;   Parent Loop BB8_7 Depth=1
                                        ; =>  This Inner Loop Header: Depth=2
	ds_load_b64 v[18:19], v17
	ds_load_b64 v[20:21], v16
	v_dual_add_nc_u32 v17, 8, v17 :: v_dual_add_nc_u32 v16, 8, v16
	s_add_co_i32 s29, s29, -1
	s_delay_alu instid0(SALU_CYCLE_1) | instskip(SKIP_2) | instid1(VALU_DEP_1)
	s_cmp_lg_u32 s29, 0
	s_wait_dscnt 0x0
	v_pk_fma_f32 v[10:11], v[20:21], v[18:19], v[10:11] op_sel_hi:[1,0,1]
	v_pk_fma_f32 v[10:11], v[20:21], v[18:19], v[10:11] op_sel:[1,1,0] op_sel_hi:[0,1,1] neg_lo:[1,0,0]
	s_cbranch_scc1 .LBB8_27
.LBB8_28:                               ;   in Loop: Header=BB8_7 Depth=1
	s_or_b32 exec_lo, exec_lo, s28
	s_and_saveexec_b32 s28, s27
	s_cbranch_execz .LBB8_5
; %bb.29:                               ;   in Loop: Header=BB8_7 Depth=1
	v_dual_mov_b32 v16, v25 :: v_dual_mov_b32 v17, v26
	s_mov_b32 s29, s25
.LBB8_30:                               ;   Parent Loop BB8_7 Depth=1
                                        ; =>  This Inner Loop Header: Depth=2
	ds_load_b64 v[18:19], v17
	ds_load_b64 v[20:21], v16
	v_dual_add_nc_u32 v17, 8, v17 :: v_dual_add_nc_u32 v16, 8, v16
	s_add_co_i32 s29, s29, -1
	s_delay_alu instid0(SALU_CYCLE_1) | instskip(SKIP_2) | instid1(VALU_DEP_1)
	s_cmp_lg_u32 s29, 0
	s_wait_dscnt 0x0
	v_pk_fma_f32 v[0:1], v[20:21], v[18:19], v[0:1] op_sel_hi:[1,0,1]
	v_pk_fma_f32 v[0:1], v[20:21], v[18:19], v[0:1] op_sel:[1,1,0] op_sel_hi:[0,1,1] neg_lo:[1,0,0]
	s_cbranch_scc1 .LBB8_30
	s_branch .LBB8_5
.LBB8_31:
	v_mov_b64_e32 v[0:1], 0
	v_mov_b64_e32 v[10:11], 0
.LBB8_32:
	s_load_b64 s[6:7], s[0:1], 0x50
	s_and_b32 s5, s21, s5
	s_delay_alu instid0(SALU_CYCLE_1)
	s_and_b32 exec_lo, exec_lo, s5
	s_cbranch_execz .LBB8_43
; %bb.33:
	v_mad_u32 v12, s24, s10, v22
	s_wait_xcnt 0x0
	s_load_b64 s[0:1], s[0:1], 0x58
	v_cmp_neq_f32_e32 vcc_lo, 0, v4
	s_xor_b32 s3, s3, -1
	s_delay_alu instid0(SALU_CYCLE_1) | instskip(NEXT) | instid1(VALU_DEP_2)
	s_or_b32 s3, vcc_lo, s3
	v_ashrrev_i32_e32 v13, 31, v12
	s_wait_kmcnt 0x0
	s_delay_alu instid0(VALU_DEP_1)
	v_lshl_add_u64 v[12:13], v[12:13], 3, s[6:7]
	s_and_saveexec_b32 s5, s4
	s_cbranch_execz .LBB8_38
; %bb.34:
	v_ashrrev_i32_e32 v9, 31, v8
	s_and_saveexec_b32 s4, s3
	s_delay_alu instid0(SALU_CYCLE_1)
	s_xor_b32 s4, exec_lo, s4
	s_cbranch_execz .LBB8_36
; %bb.35:
	s_delay_alu instid0(VALU_DEP_1) | instskip(SKIP_2) | instid1(VALU_DEP_1)
	v_mul_u64_e32 v[8:9], s[0:1], v[8:9]
	v_xor_b32_e32 v16, 0x80000000, v3
	v_mov_b32_e32 v17, v2
	v_pk_mul_f32 v[16:17], v[10:11], v[16:17] op_sel:[1,0]
	s_delay_alu instid0(VALU_DEP_1)
	v_pk_fma_f32 v[10:11], v[2:3], v[10:11], v[16:17] op_sel_hi:[1,0,1]
	v_xor_b32_e32 v16, 0x80000000, v5
	v_mov_b32_e32 v17, v4
	v_lshl_add_u64 v[8:9], v[8:9], 3, v[12:13]
	global_load_b64 v[14:15], v[8:9], off
	s_wait_loadcnt 0x0
	v_pk_fma_f32 v[10:11], v[4:5], v[14:15], v[10:11] op_sel_hi:[1,0,1]
	s_delay_alu instid0(VALU_DEP_1)
	v_pk_fma_f32 v[10:11], v[16:17], v[14:15], v[10:11] op_sel:[0,1,0]
	global_store_b64 v[8:9], v[10:11], off
                                        ; implicit-def: $vgpr10_vgpr11
                                        ; implicit-def: $vgpr8
.LBB8_36:
	s_wait_xcnt 0x0
	s_and_not1_saveexec_b32 s4, s4
	s_cbranch_execz .LBB8_38
; %bb.37:
	v_mul_u64_e32 v[8:9], s[0:1], v[8:9]
	v_xor_b32_e32 v14, 0x80000000, v3
	v_mov_b32_e32 v15, v2
	s_delay_alu instid0(VALU_DEP_1) | instskip(NEXT) | instid1(VALU_DEP_1)
	v_pk_mul_f32 v[14:15], v[10:11], v[14:15] op_sel:[1,0]
	v_pk_fma_f32 v[10:11], v[2:3], v[10:11], v[14:15] op_sel_hi:[1,0,1]
	v_lshl_add_u64 v[8:9], v[8:9], 3, v[12:13]
	global_store_b64 v[8:9], v[10:11], off
.LBB8_38:
	s_wait_xcnt 0x0
	s_or_b32 exec_lo, exec_lo, s5
	s_delay_alu instid0(SALU_CYCLE_1)
	s_and_b32 exec_lo, exec_lo, s2
	s_cbranch_execz .LBB8_43
; %bb.39:
	v_ashrrev_i32_e32 v7, 31, v6
	v_xor_b32_e32 v8, 0x80000000, v3
	s_and_saveexec_b32 s2, s3
	s_delay_alu instid0(SALU_CYCLE_1)
	s_xor_b32 s2, exec_lo, s2
	s_cbranch_execz .LBB8_41
; %bb.40:
	v_mul_u64_e32 v[6:7], s[0:1], v[6:7]
	v_mov_b32_e32 v9, v2
	s_delay_alu instid0(VALU_DEP_1) | instskip(NEXT) | instid1(VALU_DEP_1)
	v_pk_mul_f32 v[8:9], v[0:1], v[8:9] op_sel:[1,0]
	v_pk_fma_f32 v[0:1], v[2:3], v[0:1], v[8:9] op_sel_hi:[1,0,1]
	v_xor_b32_e32 v2, 0x80000000, v5
	v_mov_b32_e32 v3, v4
                                        ; implicit-def: $vgpr8
	v_lshl_add_u64 v[6:7], v[6:7], 3, v[12:13]
                                        ; implicit-def: $vgpr12_vgpr13
	global_load_b64 v[10:11], v[6:7], off
	s_wait_loadcnt 0x0
	v_pk_fma_f32 v[0:1], v[4:5], v[10:11], v[0:1] op_sel_hi:[1,0,1]
	s_delay_alu instid0(VALU_DEP_1)
	v_pk_fma_f32 v[0:1], v[2:3], v[10:11], v[0:1] op_sel:[0,1,0]
                                        ; implicit-def: $vgpr2_vgpr3
	global_store_b64 v[6:7], v[0:1], off
                                        ; implicit-def: $vgpr0_vgpr1
                                        ; implicit-def: $vgpr6
.LBB8_41:
	s_wait_xcnt 0x0
	s_and_not1_saveexec_b32 s2, s2
	s_cbranch_execz .LBB8_43
; %bb.42:
	v_mul_u64_e32 v[4:5], s[0:1], v[6:7]
	v_mov_b32_e32 v9, v2
	s_delay_alu instid0(VALU_DEP_1) | instskip(NEXT) | instid1(VALU_DEP_1)
	v_pk_mul_f32 v[6:7], v[0:1], v[8:9] op_sel:[1,0]
	v_pk_fma_f32 v[0:1], v[2:3], v[0:1], v[6:7] op_sel_hi:[1,0,1]
	s_delay_alu instid0(VALU_DEP_4)
	v_lshl_add_u64 v[4:5], v[4:5], 3, v[12:13]
	global_store_b64 v[4:5], v[0:1], off
.LBB8_43:
	s_endpgm
	.section	.rodata,"a",@progbits
	.p2align	6, 0x0
	.amdhsa_kernel _ZN9rocsparseL33gebsrmm_large_blockdim_kernel_extILi32ELi32ELi2E21rocsparse_complex_numIfEEEv20rocsparse_direction_20rocsparse_operation_iiNS_24const_host_device_scalarIT2_EEPKiS9_PKS6_iiSB_lS7_PS6_l21rocsparse_index_base_b
		.amdhsa_group_segment_fixed_size 24576
		.amdhsa_private_segment_fixed_size 0
		.amdhsa_kernarg_size 104
		.amdhsa_user_sgpr_count 2
		.amdhsa_user_sgpr_dispatch_ptr 0
		.amdhsa_user_sgpr_queue_ptr 0
		.amdhsa_user_sgpr_kernarg_segment_ptr 1
		.amdhsa_user_sgpr_dispatch_id 0
		.amdhsa_user_sgpr_kernarg_preload_length 0
		.amdhsa_user_sgpr_kernarg_preload_offset 0
		.amdhsa_user_sgpr_private_segment_size 0
		.amdhsa_wavefront_size32 1
		.amdhsa_uses_dynamic_stack 0
		.amdhsa_enable_private_segment 0
		.amdhsa_system_sgpr_workgroup_id_x 1
		.amdhsa_system_sgpr_workgroup_id_y 1
		.amdhsa_system_sgpr_workgroup_id_z 0
		.amdhsa_system_sgpr_workgroup_info 0
		.amdhsa_system_vgpr_workitem_id 1
		.amdhsa_next_free_vgpr 29
		.amdhsa_next_free_sgpr 32
		.amdhsa_named_barrier_count 0
		.amdhsa_reserve_vcc 1
		.amdhsa_float_round_mode_32 0
		.amdhsa_float_round_mode_16_64 0
		.amdhsa_float_denorm_mode_32 3
		.amdhsa_float_denorm_mode_16_64 3
		.amdhsa_fp16_overflow 0
		.amdhsa_memory_ordered 1
		.amdhsa_forward_progress 1
		.amdhsa_inst_pref_size 14
		.amdhsa_round_robin_scheduling 0
		.amdhsa_exception_fp_ieee_invalid_op 0
		.amdhsa_exception_fp_denorm_src 0
		.amdhsa_exception_fp_ieee_div_zero 0
		.amdhsa_exception_fp_ieee_overflow 0
		.amdhsa_exception_fp_ieee_underflow 0
		.amdhsa_exception_fp_ieee_inexact 0
		.amdhsa_exception_int_div_zero 0
	.end_amdhsa_kernel
	.section	.text._ZN9rocsparseL33gebsrmm_large_blockdim_kernel_extILi32ELi32ELi2E21rocsparse_complex_numIfEEEv20rocsparse_direction_20rocsparse_operation_iiNS_24const_host_device_scalarIT2_EEPKiS9_PKS6_iiSB_lS7_PS6_l21rocsparse_index_base_b,"axG",@progbits,_ZN9rocsparseL33gebsrmm_large_blockdim_kernel_extILi32ELi32ELi2E21rocsparse_complex_numIfEEEv20rocsparse_direction_20rocsparse_operation_iiNS_24const_host_device_scalarIT2_EEPKiS9_PKS6_iiSB_lS7_PS6_l21rocsparse_index_base_b,comdat
.Lfunc_end8:
	.size	_ZN9rocsparseL33gebsrmm_large_blockdim_kernel_extILi32ELi32ELi2E21rocsparse_complex_numIfEEEv20rocsparse_direction_20rocsparse_operation_iiNS_24const_host_device_scalarIT2_EEPKiS9_PKS6_iiSB_lS7_PS6_l21rocsparse_index_base_b, .Lfunc_end8-_ZN9rocsparseL33gebsrmm_large_blockdim_kernel_extILi32ELi32ELi2E21rocsparse_complex_numIfEEEv20rocsparse_direction_20rocsparse_operation_iiNS_24const_host_device_scalarIT2_EEPKiS9_PKS6_iiSB_lS7_PS6_l21rocsparse_index_base_b
                                        ; -- End function
	.set _ZN9rocsparseL33gebsrmm_large_blockdim_kernel_extILi32ELi32ELi2E21rocsparse_complex_numIfEEEv20rocsparse_direction_20rocsparse_operation_iiNS_24const_host_device_scalarIT2_EEPKiS9_PKS6_iiSB_lS7_PS6_l21rocsparse_index_base_b.num_vgpr, 29
	.set _ZN9rocsparseL33gebsrmm_large_blockdim_kernel_extILi32ELi32ELi2E21rocsparse_complex_numIfEEEv20rocsparse_direction_20rocsparse_operation_iiNS_24const_host_device_scalarIT2_EEPKiS9_PKS6_iiSB_lS7_PS6_l21rocsparse_index_base_b.num_agpr, 0
	.set _ZN9rocsparseL33gebsrmm_large_blockdim_kernel_extILi32ELi32ELi2E21rocsparse_complex_numIfEEEv20rocsparse_direction_20rocsparse_operation_iiNS_24const_host_device_scalarIT2_EEPKiS9_PKS6_iiSB_lS7_PS6_l21rocsparse_index_base_b.numbered_sgpr, 32
	.set _ZN9rocsparseL33gebsrmm_large_blockdim_kernel_extILi32ELi32ELi2E21rocsparse_complex_numIfEEEv20rocsparse_direction_20rocsparse_operation_iiNS_24const_host_device_scalarIT2_EEPKiS9_PKS6_iiSB_lS7_PS6_l21rocsparse_index_base_b.num_named_barrier, 0
	.set _ZN9rocsparseL33gebsrmm_large_blockdim_kernel_extILi32ELi32ELi2E21rocsparse_complex_numIfEEEv20rocsparse_direction_20rocsparse_operation_iiNS_24const_host_device_scalarIT2_EEPKiS9_PKS6_iiSB_lS7_PS6_l21rocsparse_index_base_b.private_seg_size, 0
	.set _ZN9rocsparseL33gebsrmm_large_blockdim_kernel_extILi32ELi32ELi2E21rocsparse_complex_numIfEEEv20rocsparse_direction_20rocsparse_operation_iiNS_24const_host_device_scalarIT2_EEPKiS9_PKS6_iiSB_lS7_PS6_l21rocsparse_index_base_b.uses_vcc, 1
	.set _ZN9rocsparseL33gebsrmm_large_blockdim_kernel_extILi32ELi32ELi2E21rocsparse_complex_numIfEEEv20rocsparse_direction_20rocsparse_operation_iiNS_24const_host_device_scalarIT2_EEPKiS9_PKS6_iiSB_lS7_PS6_l21rocsparse_index_base_b.uses_flat_scratch, 1
	.set _ZN9rocsparseL33gebsrmm_large_blockdim_kernel_extILi32ELi32ELi2E21rocsparse_complex_numIfEEEv20rocsparse_direction_20rocsparse_operation_iiNS_24const_host_device_scalarIT2_EEPKiS9_PKS6_iiSB_lS7_PS6_l21rocsparse_index_base_b.has_dyn_sized_stack, 0
	.set _ZN9rocsparseL33gebsrmm_large_blockdim_kernel_extILi32ELi32ELi2E21rocsparse_complex_numIfEEEv20rocsparse_direction_20rocsparse_operation_iiNS_24const_host_device_scalarIT2_EEPKiS9_PKS6_iiSB_lS7_PS6_l21rocsparse_index_base_b.has_recursion, 0
	.set _ZN9rocsparseL33gebsrmm_large_blockdim_kernel_extILi32ELi32ELi2E21rocsparse_complex_numIfEEEv20rocsparse_direction_20rocsparse_operation_iiNS_24const_host_device_scalarIT2_EEPKiS9_PKS6_iiSB_lS7_PS6_l21rocsparse_index_base_b.has_indirect_call, 0
	.section	.AMDGPU.csdata,"",@progbits
; Kernel info:
; codeLenInByte = 1672
; TotalNumSgprs: 34
; NumVgprs: 29
; ScratchSize: 0
; MemoryBound: 0
; FloatMode: 240
; IeeeMode: 1
; LDSByteSize: 24576 bytes/workgroup (compile time only)
; SGPRBlocks: 0
; VGPRBlocks: 1
; NumSGPRsForWavesPerEU: 34
; NumVGPRsForWavesPerEU: 29
; NamedBarCnt: 0
; Occupancy: 16
; WaveLimiterHint : 1
; COMPUTE_PGM_RSRC2:SCRATCH_EN: 0
; COMPUTE_PGM_RSRC2:USER_SGPR: 2
; COMPUTE_PGM_RSRC2:TRAP_HANDLER: 0
; COMPUTE_PGM_RSRC2:TGID_X_EN: 1
; COMPUTE_PGM_RSRC2:TGID_Y_EN: 1
; COMPUTE_PGM_RSRC2:TGID_Z_EN: 0
; COMPUTE_PGM_RSRC2:TIDIG_COMP_CNT: 1
	.section	.text._ZN9rocsparseL33gebsrmm_large_blockdim_kernel_extILi8ELi8ELi2E21rocsparse_complex_numIdEEEv20rocsparse_direction_20rocsparse_operation_iiNS_24const_host_device_scalarIT2_EEPKiS9_PKS6_iiSB_lS7_PS6_l21rocsparse_index_base_b,"axG",@progbits,_ZN9rocsparseL33gebsrmm_large_blockdim_kernel_extILi8ELi8ELi2E21rocsparse_complex_numIdEEEv20rocsparse_direction_20rocsparse_operation_iiNS_24const_host_device_scalarIT2_EEPKiS9_PKS6_iiSB_lS7_PS6_l21rocsparse_index_base_b,comdat
	.globl	_ZN9rocsparseL33gebsrmm_large_blockdim_kernel_extILi8ELi8ELi2E21rocsparse_complex_numIdEEEv20rocsparse_direction_20rocsparse_operation_iiNS_24const_host_device_scalarIT2_EEPKiS9_PKS6_iiSB_lS7_PS6_l21rocsparse_index_base_b ; -- Begin function _ZN9rocsparseL33gebsrmm_large_blockdim_kernel_extILi8ELi8ELi2E21rocsparse_complex_numIdEEEv20rocsparse_direction_20rocsparse_operation_iiNS_24const_host_device_scalarIT2_EEPKiS9_PKS6_iiSB_lS7_PS6_l21rocsparse_index_base_b
	.p2align	8
	.type	_ZN9rocsparseL33gebsrmm_large_blockdim_kernel_extILi8ELi8ELi2E21rocsparse_complex_numIdEEEv20rocsparse_direction_20rocsparse_operation_iiNS_24const_host_device_scalarIT2_EEPKiS9_PKS6_iiSB_lS7_PS6_l21rocsparse_index_base_b,@function
_ZN9rocsparseL33gebsrmm_large_blockdim_kernel_extILi8ELi8ELi2E21rocsparse_complex_numIdEEEv20rocsparse_direction_20rocsparse_operation_iiNS_24const_host_device_scalarIT2_EEPKiS9_PKS6_iiSB_lS7_PS6_l21rocsparse_index_base_b: ; @_ZN9rocsparseL33gebsrmm_large_blockdim_kernel_extILi8ELi8ELi2E21rocsparse_complex_numIdEEEv20rocsparse_direction_20rocsparse_operation_iiNS_24const_host_device_scalarIT2_EEPKiS9_PKS6_iiSB_lS7_PS6_l21rocsparse_index_base_b
; %bb.0:
	s_clause 0x1
	s_load_b64 s[6:7], s[0:1], 0x70
	s_load_b64 s[2:3], s[0:1], 0x10
	v_mov_b32_e32 v1, 0
	s_add_nc_u64 s[4:5], s[0:1], 16
	s_load_b128 s[8:11], s[0:1], 0x48
	s_wait_kmcnt 0x0
	s_bitcmp1_b32 s7, 0
	s_cselect_b32 s3, s5, s3
	s_cselect_b32 s2, s4, s2
	flat_load_b128 v[6:9], v1, s[2:3]
	s_wait_xcnt 0x0
	s_add_nc_u64 s[2:3], s[0:1], 0x50
	s_delay_alu instid0(SALU_CYCLE_1)
	s_cselect_b32 s3, s3, s11
	s_cselect_b32 s2, s2, s10
	flat_load_b128 v[2:5], v1, s[2:3]
	s_wait_loadcnt_dscnt 0x101
	v_cmp_eq_f64_e32 vcc_lo, 0, v[6:7]
	s_wait_xcnt 0x0
	v_cmp_eq_f64_e64 s2, 0, v[8:9]
	s_and_b32 s4, vcc_lo, s2
	s_mov_b32 s2, -1
	s_and_saveexec_b32 s3, s4
	s_cbranch_execz .LBB9_2
; %bb.1:
	s_wait_loadcnt_dscnt 0x0
	v_cmp_neq_f64_e32 vcc_lo, 1.0, v[2:3]
	v_cmp_neq_f64_e64 s2, 0, v[4:5]
	s_or_b32 s2, vcc_lo, s2
	s_delay_alu instid0(SALU_CYCLE_1)
	s_or_not1_b32 s2, s2, exec_lo
.LBB9_2:
	s_or_b32 exec_lo, exec_lo, s3
	s_and_saveexec_b32 s3, s2
	s_cbranch_execz .LBB9_44
; %bb.3:
	s_load_b128 s[16:19], s[0:1], 0x0
	s_bfe_u32 s2, ttmp6, 0x4000c
	s_and_b32 s3, ttmp6, 15
	s_add_co_i32 s2, s2, 1
	s_mov_b32 s22, 0
	s_mul_i32 s4, ttmp9, s2
	s_getreg_b32 s2, hwreg(HW_REG_IB_STS2, 6, 4)
	s_add_co_i32 s3, s3, s4
	s_cmp_eq_u32 s2, 0
	s_mov_b32 s7, 0
	s_cselect_b32 s10, ttmp9, s3
	s_wait_kmcnt 0x0
	s_cmp_lt_i32 s10, s18
	s_cselect_b32 s24, -1, 0
	s_cmp_ge_i32 s10, s18
	s_cbranch_scc1 .LBB9_5
; %bb.4:
	s_load_b64 s[4:5], s[0:1], 0x20
	s_ashr_i32 s11, s10, 31
	s_delay_alu instid0(SALU_CYCLE_1)
	s_lshl_b64 s[12:13], s[10:11], 2
	s_wait_kmcnt 0x0
	s_add_nc_u64 s[4:5], s[4:5], s[12:13]
	s_load_b64 s[12:13], s[4:5], 0x0
	s_wait_kmcnt 0x0
	s_sub_co_i32 s22, s12, s6
	s_sub_co_i32 s7, s13, s6
.LBB9_5:
	s_bfe_u32 s3, ttmp6, 0x40010
	s_load_b64 s[20:21], s[0:1], 0x38
	s_add_co_i32 s3, s3, 1
	s_bfe_u32 s4, ttmp6, 0x40004
	s_mul_i32 s3, ttmp7, s3
	v_bfe_u32 v24, v0, 10, 10
	s_add_co_i32 s4, s4, s3
	s_cmp_eq_u32 s2, 0
	v_and_b32_e32 v30, 0x3ff, v0
	s_cselect_b32 s2, ttmp7, s4
	v_mov_b64_e32 v[18:19], 0
	v_lshl_add_u32 v14, s2, 4, v24
	v_mov_b64_e32 v[16:17], 0
	v_mov_b64_e32 v[12:13], 0
	;; [unrolled: 1-line block ×3, first 2 shown]
	s_cmp_ge_i32 s22, s7
	v_add_nc_u32_e32 v0, 8, v14
	v_cmp_gt_i32_e64 s3, s19, v14
	s_wait_kmcnt 0x0
	v_cmp_gt_i32_e64 s4, s20, v30
	s_delay_alu instid0(VALU_DEP_3)
	v_cmp_gt_i32_e64 s2, s19, v0
	s_cbranch_scc1 .LBB9_33
; %bb.6:
	v_dual_ashrrev_i32 v15, 31, v14 :: v_dual_ashrrev_i32 v1, 31, v0
	v_cmp_gt_i32_e32 vcc_lo, s21, v24
	v_mad_u32 v12, s20, v24, v30
	v_mad_u32 v13, s21, v30, v24
	s_delay_alu instid0(VALU_DEP_4)
	v_mul_u64_e32 v[10:11], s[8:9], v[14:15]
	v_mul_u64_e32 v[22:23], s[8:9], v[0:1]
	s_clause 0x1
	s_load_b128 s[12:15], s[0:1], 0x28
	s_load_b64 s[18:19], s[0:1], 0x40
	s_and_b32 s11, s4, vcc_lo
	s_cmp_lg_u32 s17, 0x6f
	v_lshl_add_u32 v32, v30, 7, 0x800
	s_cselect_b32 s17, -1, 0
	s_cmp_eq_u32 s16, 0
	v_mov_b64_e32 v[20:21], 0
	s_cselect_b32 vcc_lo, -1, 0
	v_dual_cndmask_b32 v36, v12, v13 :: v_dual_lshlrev_b32 v31, 7, v24
	v_mov_b64_e32 v[12:13], 0
	v_mov_b64_e32 v[16:17], 0
	;; [unrolled: 1-line block ×3, first 2 shown]
	s_delay_alu instid0(VALU_DEP_4)
	v_lshl_add_u32 v33, v30, 4, v31
	s_cmp_gt_i32 s21, 0
	v_cmp_gt_i32_e64 s5, s21, v30
	v_lshl_add_u32 v34, v24, 4, v32
	v_add_nc_u32_e32 v37, 0x400, v31
	v_add_nc_u32_e32 v35, 0x400, v33
	s_cselect_b32 s23, -1, 0
	s_mul_i32 s16, s21, s20
	s_and_b32 s25, s3, s23
	s_and_b32 s26, s2, s23
	s_branch .LBB9_9
.LBB9_7:                                ;   in Loop: Header=BB9_9 Depth=1
	s_or_b32 exec_lo, exec_lo, s27
.LBB9_8:                                ;   in Loop: Header=BB9_9 Depth=1
	s_delay_alu instid0(SALU_CYCLE_1) | instskip(SKIP_1) | instid1(SALU_CYCLE_1)
	s_or_b32 exec_lo, exec_lo, s23
	s_add_co_i32 s22, s22, 1
	s_cmp_ge_i32 s22, s7
	s_barrier_signal -1
	s_barrier_wait -1
	s_cbranch_scc1 .LBB9_33
.LBB9_9:                                ; =>This Loop Header: Depth=1
                                        ;     Child Loop BB9_29 Depth 2
                                        ;     Child Loop BB9_32 Depth 2
	s_and_saveexec_b32 s27, s5
	s_cbranch_execz .LBB9_24
; %bb.10:                               ;   in Loop: Header=BB9_9 Depth=1
	s_ashr_i32 s23, s22, 31
	s_and_not1_b32 vcc_lo, exec_lo, s17
	s_lshl_b64 s[28:29], s[22:23], 2
	s_wait_kmcnt 0x0
	s_add_nc_u64 s[28:29], s[12:13], s[28:29]
	s_load_b32 s23, s[28:29], 0x0
	s_wait_kmcnt 0x0
	s_sub_co_i32 s23, s23, s6
	s_delay_alu instid0(SALU_CYCLE_1) | instskip(NEXT) | instid1(VALU_DEP_1)
	v_mad_u32 v24, s23, s21, v30
	v_ashrrev_i32_e32 v25, 31, v24
	s_cbranch_vccnz .LBB9_16
; %bb.11:                               ;   in Loop: Header=BB9_9 Depth=1
	s_delay_alu instid0(VALU_DEP_1) | instskip(NEXT) | instid1(VALU_DEP_1)
	v_mul_u64_e32 v[26:27], s[8:9], v[24:25]
	v_lshl_add_u64 v[28:29], v[26:27], 4, s[18:19]
	s_and_saveexec_b32 s23, s3
	s_cbranch_execz .LBB9_13
; %bb.12:                               ;   in Loop: Header=BB9_9 Depth=1
	s_delay_alu instid0(VALU_DEP_1)
	v_lshl_add_u64 v[26:27], v[14:15], 4, v[28:29]
	global_load_b128 v[38:41], v[26:27], off
	s_wait_loadcnt 0x0
	ds_store_2addr_b64 v33, v[38:39], v[40:41] offset1:1
.LBB9_13:                               ;   in Loop: Header=BB9_9 Depth=1
	s_or_b32 exec_lo, exec_lo, s23
	s_mov_b32 s28, 0
	s_mov_b32 s23, 0
                                        ; implicit-def: $vgpr26_vgpr27
	s_and_saveexec_b32 s29, s2
	s_delay_alu instid0(SALU_CYCLE_1)
	s_xor_b32 s29, exec_lo, s29
; %bb.14:                               ;   in Loop: Header=BB9_9 Depth=1
	v_lshl_add_u64 v[26:27], v[0:1], 4, v[28:29]
	s_mov_b32 s23, exec_lo
; %bb.15:                               ;   in Loop: Header=BB9_9 Depth=1
	s_or_b32 exec_lo, exec_lo, s29
	s_delay_alu instid0(SALU_CYCLE_1)
	s_and_b32 vcc_lo, exec_lo, s28
	s_cbranch_vccnz .LBB9_17
	s_branch .LBB9_22
.LBB9_16:                               ;   in Loop: Header=BB9_9 Depth=1
	s_mov_b32 s23, 0
                                        ; implicit-def: $vgpr26_vgpr27
	s_cbranch_execz .LBB9_22
.LBB9_17:                               ;   in Loop: Header=BB9_9 Depth=1
	s_delay_alu instid0(VALU_DEP_1)
	v_lshl_add_u64 v[24:25], v[24:25], 4, s[18:19]
	s_and_saveexec_b32 s28, s3
	s_cbranch_execz .LBB9_19
; %bb.18:                               ;   in Loop: Header=BB9_9 Depth=1
	s_delay_alu instid0(VALU_DEP_1)
	v_lshl_add_u64 v[26:27], v[10:11], 4, v[24:25]
	global_load_b128 v[26:29], v[26:27], off
	s_wait_loadcnt 0x0
	ds_store_2addr_b64 v33, v[26:27], v[28:29] offset1:1
.LBB9_19:                               ;   in Loop: Header=BB9_9 Depth=1
	s_or_b32 exec_lo, exec_lo, s28
                                        ; implicit-def: $vgpr26_vgpr27
	s_and_saveexec_b32 s28, s2
; %bb.20:                               ;   in Loop: Header=BB9_9 Depth=1
	v_lshl_add_u64 v[26:27], v[22:23], 4, v[24:25]
	s_or_b32 s23, s23, exec_lo
; %bb.21:                               ;   in Loop: Header=BB9_9 Depth=1
	s_or_b32 exec_lo, exec_lo, s28
.LBB9_22:                               ;   in Loop: Header=BB9_9 Depth=1
	s_delay_alu instid0(SALU_CYCLE_1)
	s_and_b32 exec_lo, exec_lo, s23
	s_cbranch_execz .LBB9_24
; %bb.23:                               ;   in Loop: Header=BB9_9 Depth=1
	global_load_b128 v[24:27], v[26:27], off
	s_wait_loadcnt 0x0
	ds_store_2addr_b64 v35, v[24:25], v[26:27] offset1:1
.LBB9_24:                               ;   in Loop: Header=BB9_9 Depth=1
	s_or_b32 exec_lo, exec_lo, s27
	s_and_saveexec_b32 s23, s11
	s_cbranch_execz .LBB9_26
; %bb.25:                               ;   in Loop: Header=BB9_9 Depth=1
	v_mad_u32 v24, s16, s22, v36
	s_wait_kmcnt 0x0
	global_load_b128 v[24:27], v24, s[14:15] scale_offset
	s_wait_loadcnt 0x0
	ds_store_2addr_b64 v34, v[24:25], v[26:27] offset1:1
.LBB9_26:                               ;   in Loop: Header=BB9_9 Depth=1
	s_or_b32 exec_lo, exec_lo, s23
	s_wait_loadcnt_dscnt 0x0
	s_barrier_signal -1
	s_barrier_wait -1
	s_and_saveexec_b32 s23, s4
	s_cbranch_execz .LBB9_8
; %bb.27:                               ;   in Loop: Header=BB9_9 Depth=1
	s_and_saveexec_b32 s27, s25
	s_cbranch_execz .LBB9_30
; %bb.28:                               ;   in Loop: Header=BB9_9 Depth=1
	v_dual_mov_b32 v24, v32 :: v_dual_mov_b32 v25, v31
	s_mov_b32 s28, s21
.LBB9_29:                               ;   Parent Loop BB9_9 Depth=1
                                        ; =>  This Inner Loop Header: Depth=2
	ds_load_b128 v[26:29], v24
	ds_load_b128 v[38:41], v25
	v_dual_add_nc_u32 v25, 16, v25 :: v_dual_add_nc_u32 v24, 16, v24
	s_add_co_i32 s28, s28, -1
	s_delay_alu instid0(SALU_CYCLE_1) | instskip(SKIP_3) | instid1(VALU_DEP_2)
	s_cmp_lg_u32 s28, 0
	s_wait_dscnt 0x0
	v_fmac_f64_e32 v[20:21], v[26:27], v[38:39]
	v_fmac_f64_e32 v[12:13], v[28:29], v[38:39]
	v_fma_f64 v[20:21], -v[28:29], v[40:41], v[20:21]
	s_delay_alu instid0(VALU_DEP_2)
	v_fmac_f64_e32 v[12:13], v[26:27], v[40:41]
	s_cbranch_scc1 .LBB9_29
.LBB9_30:                               ;   in Loop: Header=BB9_9 Depth=1
	s_or_b32 exec_lo, exec_lo, s27
	s_and_saveexec_b32 s27, s26
	s_cbranch_execz .LBB9_7
; %bb.31:                               ;   in Loop: Header=BB9_9 Depth=1
	v_dual_mov_b32 v24, v32 :: v_dual_mov_b32 v25, v37
	s_mov_b32 s28, s21
.LBB9_32:                               ;   Parent Loop BB9_9 Depth=1
                                        ; =>  This Inner Loop Header: Depth=2
	ds_load_b128 v[26:29], v24
	ds_load_b128 v[38:41], v25
	v_dual_add_nc_u32 v25, 16, v25 :: v_dual_add_nc_u32 v24, 16, v24
	s_add_co_i32 s28, s28, -1
	s_delay_alu instid0(SALU_CYCLE_1) | instskip(SKIP_3) | instid1(VALU_DEP_2)
	s_cmp_lg_u32 s28, 0
	s_wait_dscnt 0x0
	v_fmac_f64_e32 v[16:17], v[26:27], v[38:39]
	v_fmac_f64_e32 v[18:19], v[28:29], v[38:39]
	v_fma_f64 v[16:17], -v[28:29], v[40:41], v[16:17]
	s_delay_alu instid0(VALU_DEP_2)
	v_fmac_f64_e32 v[18:19], v[26:27], v[40:41]
	s_cbranch_scc1 .LBB9_32
	s_branch .LBB9_7
.LBB9_33:
	s_load_b64 s[6:7], s[0:1], 0x60
	s_and_b32 s4, s24, s4
	s_delay_alu instid0(SALU_CYCLE_1)
	s_and_b32 exec_lo, exec_lo, s4
	s_cbranch_execz .LBB9_44
; %bb.34:
	s_wait_loadcnt_dscnt 0x0
	v_cmp_neq_f64_e32 vcc_lo, 0, v[2:3]
	v_cmp_neq_f64_e64 s4, 0, v[4:5]
	v_mad_u32 v10, s20, s10, v30
	s_wait_xcnt 0x0
	s_load_b64 s[0:1], s[0:1], 0x68
	s_delay_alu instid0(VALU_DEP_1) | instskip(SKIP_1) | instid1(VALU_DEP_1)
	v_ashrrev_i32_e32 v11, 31, v10
	s_wait_kmcnt 0x0
	v_lshl_add_u64 v[22:23], v[10:11], 4, s[6:7]
	s_or_b32 s4, vcc_lo, s4
	s_and_saveexec_b32 s5, s3
	s_cbranch_execz .LBB9_39
; %bb.35:
	v_dual_mul_f64 v[10:11], v[12:13], -v[8:9] :: v_dual_ashrrev_i32 v15, 31, v14
	v_mul_f64_e32 v[12:13], v[6:7], v[12:13]
	s_delay_alu instid0(VALU_DEP_2) | instskip(NEXT) | instid1(VALU_DEP_2)
	v_fmac_f64_e32 v[10:11], v[6:7], v[20:21]
	v_fmac_f64_e32 v[12:13], v[8:9], v[20:21]
	s_and_saveexec_b32 s3, s4
	s_delay_alu instid0(SALU_CYCLE_1)
	s_xor_b32 s3, exec_lo, s3
	s_cbranch_execz .LBB9_37
; %bb.36:
	v_mul_u64_e32 v[14:15], s[0:1], v[14:15]
	s_delay_alu instid0(VALU_DEP_1) | instskip(SKIP_4) | instid1(VALU_DEP_2)
	v_lshl_add_u64 v[14:15], v[14:15], 4, v[22:23]
	global_load_b128 v[24:27], v[14:15], off
	s_wait_loadcnt 0x0
	v_fmac_f64_e32 v[10:11], v[2:3], v[24:25]
	v_fmac_f64_e32 v[12:13], v[4:5], v[24:25]
	v_fma_f64 v[10:11], -v[4:5], v[26:27], v[10:11]
	s_delay_alu instid0(VALU_DEP_2)
	v_fmac_f64_e32 v[12:13], v[2:3], v[26:27]
	global_store_b128 v[14:15], v[10:13], off
                                        ; implicit-def: $vgpr14
                                        ; implicit-def: $vgpr10_vgpr11
.LBB9_37:
	s_wait_xcnt 0x0
	s_and_not1_saveexec_b32 s3, s3
	s_cbranch_execz .LBB9_39
; %bb.38:
	v_mul_u64_e32 v[14:15], s[0:1], v[14:15]
	s_delay_alu instid0(VALU_DEP_1)
	v_lshl_add_u64 v[14:15], v[14:15], 4, v[22:23]
	global_store_b128 v[14:15], v[10:13], off
.LBB9_39:
	s_wait_xcnt 0x0
	s_or_b32 exec_lo, exec_lo, s5
	s_delay_alu instid0(SALU_CYCLE_1)
	s_and_b32 exec_lo, exec_lo, s2
	s_cbranch_execz .LBB9_44
; %bb.40:
	v_mul_f64_e64 v[10:11], v[18:19], -v[8:9]
	v_dual_mul_f64 v[12:13], v[6:7], v[18:19] :: v_dual_ashrrev_i32 v1, 31, v0
	s_delay_alu instid0(VALU_DEP_2) | instskip(NEXT) | instid1(VALU_DEP_2)
	v_fmac_f64_e32 v[10:11], v[6:7], v[16:17]
	v_fmac_f64_e32 v[12:13], v[8:9], v[16:17]
	s_and_saveexec_b32 s2, s4
	s_delay_alu instid0(SALU_CYCLE_1)
	s_xor_b32 s2, exec_lo, s2
	s_cbranch_execz .LBB9_42
; %bb.41:
	v_mul_u64_e32 v[0:1], s[0:1], v[0:1]
	s_delay_alu instid0(VALU_DEP_1) | instskip(SKIP_4) | instid1(VALU_DEP_2)
	v_lshl_add_u64 v[0:1], v[0:1], 4, v[22:23]
                                        ; implicit-def: $vgpr22_vgpr23
	global_load_b128 v[6:9], v[0:1], off
	s_wait_loadcnt 0x0
	v_fmac_f64_e32 v[10:11], v[2:3], v[6:7]
	v_fmac_f64_e32 v[12:13], v[4:5], v[6:7]
	v_fma_f64 v[10:11], -v[4:5], v[8:9], v[10:11]
	s_delay_alu instid0(VALU_DEP_2)
	v_fmac_f64_e32 v[12:13], v[2:3], v[8:9]
	global_store_b128 v[0:1], v[10:13], off
                                        ; implicit-def: $vgpr0
                                        ; implicit-def: $vgpr10_vgpr11
.LBB9_42:
	s_wait_xcnt 0x0
	s_and_not1_saveexec_b32 s2, s2
	s_cbranch_execz .LBB9_44
; %bb.43:
	v_mul_u64_e32 v[0:1], s[0:1], v[0:1]
	s_delay_alu instid0(VALU_DEP_1)
	v_lshl_add_u64 v[0:1], v[0:1], 4, v[22:23]
	global_store_b128 v[0:1], v[10:13], off
.LBB9_44:
	s_endpgm
	.section	.rodata,"a",@progbits
	.p2align	6, 0x0
	.amdhsa_kernel _ZN9rocsparseL33gebsrmm_large_blockdim_kernel_extILi8ELi8ELi2E21rocsparse_complex_numIdEEEv20rocsparse_direction_20rocsparse_operation_iiNS_24const_host_device_scalarIT2_EEPKiS9_PKS6_iiSB_lS7_PS6_l21rocsparse_index_base_b
		.amdhsa_group_segment_fixed_size 3072
		.amdhsa_private_segment_fixed_size 0
		.amdhsa_kernarg_size 120
		.amdhsa_user_sgpr_count 2
		.amdhsa_user_sgpr_dispatch_ptr 0
		.amdhsa_user_sgpr_queue_ptr 0
		.amdhsa_user_sgpr_kernarg_segment_ptr 1
		.amdhsa_user_sgpr_dispatch_id 0
		.amdhsa_user_sgpr_kernarg_preload_length 0
		.amdhsa_user_sgpr_kernarg_preload_offset 0
		.amdhsa_user_sgpr_private_segment_size 0
		.amdhsa_wavefront_size32 1
		.amdhsa_uses_dynamic_stack 0
		.amdhsa_enable_private_segment 0
		.amdhsa_system_sgpr_workgroup_id_x 1
		.amdhsa_system_sgpr_workgroup_id_y 1
		.amdhsa_system_sgpr_workgroup_id_z 0
		.amdhsa_system_sgpr_workgroup_info 0
		.amdhsa_system_vgpr_workitem_id 1
		.amdhsa_next_free_vgpr 42
		.amdhsa_next_free_sgpr 30
		.amdhsa_named_barrier_count 0
		.amdhsa_reserve_vcc 1
		.amdhsa_float_round_mode_32 0
		.amdhsa_float_round_mode_16_64 0
		.amdhsa_float_denorm_mode_32 3
		.amdhsa_float_denorm_mode_16_64 3
		.amdhsa_fp16_overflow 0
		.amdhsa_memory_ordered 1
		.amdhsa_forward_progress 1
		.amdhsa_inst_pref_size 13
		.amdhsa_round_robin_scheduling 0
		.amdhsa_exception_fp_ieee_invalid_op 0
		.amdhsa_exception_fp_denorm_src 0
		.amdhsa_exception_fp_ieee_div_zero 0
		.amdhsa_exception_fp_ieee_overflow 0
		.amdhsa_exception_fp_ieee_underflow 0
		.amdhsa_exception_fp_ieee_inexact 0
		.amdhsa_exception_int_div_zero 0
	.end_amdhsa_kernel
	.section	.text._ZN9rocsparseL33gebsrmm_large_blockdim_kernel_extILi8ELi8ELi2E21rocsparse_complex_numIdEEEv20rocsparse_direction_20rocsparse_operation_iiNS_24const_host_device_scalarIT2_EEPKiS9_PKS6_iiSB_lS7_PS6_l21rocsparse_index_base_b,"axG",@progbits,_ZN9rocsparseL33gebsrmm_large_blockdim_kernel_extILi8ELi8ELi2E21rocsparse_complex_numIdEEEv20rocsparse_direction_20rocsparse_operation_iiNS_24const_host_device_scalarIT2_EEPKiS9_PKS6_iiSB_lS7_PS6_l21rocsparse_index_base_b,comdat
.Lfunc_end9:
	.size	_ZN9rocsparseL33gebsrmm_large_blockdim_kernel_extILi8ELi8ELi2E21rocsparse_complex_numIdEEEv20rocsparse_direction_20rocsparse_operation_iiNS_24const_host_device_scalarIT2_EEPKiS9_PKS6_iiSB_lS7_PS6_l21rocsparse_index_base_b, .Lfunc_end9-_ZN9rocsparseL33gebsrmm_large_blockdim_kernel_extILi8ELi8ELi2E21rocsparse_complex_numIdEEEv20rocsparse_direction_20rocsparse_operation_iiNS_24const_host_device_scalarIT2_EEPKiS9_PKS6_iiSB_lS7_PS6_l21rocsparse_index_base_b
                                        ; -- End function
	.set _ZN9rocsparseL33gebsrmm_large_blockdim_kernel_extILi8ELi8ELi2E21rocsparse_complex_numIdEEEv20rocsparse_direction_20rocsparse_operation_iiNS_24const_host_device_scalarIT2_EEPKiS9_PKS6_iiSB_lS7_PS6_l21rocsparse_index_base_b.num_vgpr, 42
	.set _ZN9rocsparseL33gebsrmm_large_blockdim_kernel_extILi8ELi8ELi2E21rocsparse_complex_numIdEEEv20rocsparse_direction_20rocsparse_operation_iiNS_24const_host_device_scalarIT2_EEPKiS9_PKS6_iiSB_lS7_PS6_l21rocsparse_index_base_b.num_agpr, 0
	.set _ZN9rocsparseL33gebsrmm_large_blockdim_kernel_extILi8ELi8ELi2E21rocsparse_complex_numIdEEEv20rocsparse_direction_20rocsparse_operation_iiNS_24const_host_device_scalarIT2_EEPKiS9_PKS6_iiSB_lS7_PS6_l21rocsparse_index_base_b.numbered_sgpr, 30
	.set _ZN9rocsparseL33gebsrmm_large_blockdim_kernel_extILi8ELi8ELi2E21rocsparse_complex_numIdEEEv20rocsparse_direction_20rocsparse_operation_iiNS_24const_host_device_scalarIT2_EEPKiS9_PKS6_iiSB_lS7_PS6_l21rocsparse_index_base_b.num_named_barrier, 0
	.set _ZN9rocsparseL33gebsrmm_large_blockdim_kernel_extILi8ELi8ELi2E21rocsparse_complex_numIdEEEv20rocsparse_direction_20rocsparse_operation_iiNS_24const_host_device_scalarIT2_EEPKiS9_PKS6_iiSB_lS7_PS6_l21rocsparse_index_base_b.private_seg_size, 0
	.set _ZN9rocsparseL33gebsrmm_large_blockdim_kernel_extILi8ELi8ELi2E21rocsparse_complex_numIdEEEv20rocsparse_direction_20rocsparse_operation_iiNS_24const_host_device_scalarIT2_EEPKiS9_PKS6_iiSB_lS7_PS6_l21rocsparse_index_base_b.uses_vcc, 1
	.set _ZN9rocsparseL33gebsrmm_large_blockdim_kernel_extILi8ELi8ELi2E21rocsparse_complex_numIdEEEv20rocsparse_direction_20rocsparse_operation_iiNS_24const_host_device_scalarIT2_EEPKiS9_PKS6_iiSB_lS7_PS6_l21rocsparse_index_base_b.uses_flat_scratch, 0
	.set _ZN9rocsparseL33gebsrmm_large_blockdim_kernel_extILi8ELi8ELi2E21rocsparse_complex_numIdEEEv20rocsparse_direction_20rocsparse_operation_iiNS_24const_host_device_scalarIT2_EEPKiS9_PKS6_iiSB_lS7_PS6_l21rocsparse_index_base_b.has_dyn_sized_stack, 0
	.set _ZN9rocsparseL33gebsrmm_large_blockdim_kernel_extILi8ELi8ELi2E21rocsparse_complex_numIdEEEv20rocsparse_direction_20rocsparse_operation_iiNS_24const_host_device_scalarIT2_EEPKiS9_PKS6_iiSB_lS7_PS6_l21rocsparse_index_base_b.has_recursion, 0
	.set _ZN9rocsparseL33gebsrmm_large_blockdim_kernel_extILi8ELi8ELi2E21rocsparse_complex_numIdEEEv20rocsparse_direction_20rocsparse_operation_iiNS_24const_host_device_scalarIT2_EEPKiS9_PKS6_iiSB_lS7_PS6_l21rocsparse_index_base_b.has_indirect_call, 0
	.section	.AMDGPU.csdata,"",@progbits
; Kernel info:
; codeLenInByte = 1640
; TotalNumSgprs: 32
; NumVgprs: 42
; ScratchSize: 0
; MemoryBound: 0
; FloatMode: 240
; IeeeMode: 1
; LDSByteSize: 3072 bytes/workgroup (compile time only)
; SGPRBlocks: 0
; VGPRBlocks: 2
; NumSGPRsForWavesPerEU: 32
; NumVGPRsForWavesPerEU: 42
; NamedBarCnt: 0
; Occupancy: 16
; WaveLimiterHint : 0
; COMPUTE_PGM_RSRC2:SCRATCH_EN: 0
; COMPUTE_PGM_RSRC2:USER_SGPR: 2
; COMPUTE_PGM_RSRC2:TRAP_HANDLER: 0
; COMPUTE_PGM_RSRC2:TGID_X_EN: 1
; COMPUTE_PGM_RSRC2:TGID_Y_EN: 1
; COMPUTE_PGM_RSRC2:TGID_Z_EN: 0
; COMPUTE_PGM_RSRC2:TIDIG_COMP_CNT: 1
	.section	.text._ZN9rocsparseL33gebsrmm_large_blockdim_kernel_extILi16ELi16ELi2E21rocsparse_complex_numIdEEEv20rocsparse_direction_20rocsparse_operation_iiNS_24const_host_device_scalarIT2_EEPKiS9_PKS6_iiSB_lS7_PS6_l21rocsparse_index_base_b,"axG",@progbits,_ZN9rocsparseL33gebsrmm_large_blockdim_kernel_extILi16ELi16ELi2E21rocsparse_complex_numIdEEEv20rocsparse_direction_20rocsparse_operation_iiNS_24const_host_device_scalarIT2_EEPKiS9_PKS6_iiSB_lS7_PS6_l21rocsparse_index_base_b,comdat
	.globl	_ZN9rocsparseL33gebsrmm_large_blockdim_kernel_extILi16ELi16ELi2E21rocsparse_complex_numIdEEEv20rocsparse_direction_20rocsparse_operation_iiNS_24const_host_device_scalarIT2_EEPKiS9_PKS6_iiSB_lS7_PS6_l21rocsparse_index_base_b ; -- Begin function _ZN9rocsparseL33gebsrmm_large_blockdim_kernel_extILi16ELi16ELi2E21rocsparse_complex_numIdEEEv20rocsparse_direction_20rocsparse_operation_iiNS_24const_host_device_scalarIT2_EEPKiS9_PKS6_iiSB_lS7_PS6_l21rocsparse_index_base_b
	.p2align	8
	.type	_ZN9rocsparseL33gebsrmm_large_blockdim_kernel_extILi16ELi16ELi2E21rocsparse_complex_numIdEEEv20rocsparse_direction_20rocsparse_operation_iiNS_24const_host_device_scalarIT2_EEPKiS9_PKS6_iiSB_lS7_PS6_l21rocsparse_index_base_b,@function
_ZN9rocsparseL33gebsrmm_large_blockdim_kernel_extILi16ELi16ELi2E21rocsparse_complex_numIdEEEv20rocsparse_direction_20rocsparse_operation_iiNS_24const_host_device_scalarIT2_EEPKiS9_PKS6_iiSB_lS7_PS6_l21rocsparse_index_base_b: ; @_ZN9rocsparseL33gebsrmm_large_blockdim_kernel_extILi16ELi16ELi2E21rocsparse_complex_numIdEEEv20rocsparse_direction_20rocsparse_operation_iiNS_24const_host_device_scalarIT2_EEPKiS9_PKS6_iiSB_lS7_PS6_l21rocsparse_index_base_b
; %bb.0:
	s_clause 0x1
	s_load_b64 s[6:7], s[0:1], 0x70
	s_load_b64 s[2:3], s[0:1], 0x10
	v_mov_b32_e32 v1, 0
	s_add_nc_u64 s[4:5], s[0:1], 16
	s_load_b128 s[8:11], s[0:1], 0x48
	s_wait_kmcnt 0x0
	s_bitcmp1_b32 s7, 0
	s_cselect_b32 s3, s5, s3
	s_cselect_b32 s2, s4, s2
	flat_load_b128 v[6:9], v1, s[2:3]
	s_wait_xcnt 0x0
	s_add_nc_u64 s[2:3], s[0:1], 0x50
	s_delay_alu instid0(SALU_CYCLE_1)
	s_cselect_b32 s3, s3, s11
	s_cselect_b32 s2, s2, s10
	flat_load_b128 v[2:5], v1, s[2:3]
	s_wait_loadcnt_dscnt 0x101
	v_cmp_eq_f64_e32 vcc_lo, 0, v[6:7]
	s_wait_xcnt 0x0
	v_cmp_eq_f64_e64 s2, 0, v[8:9]
	s_and_b32 s4, vcc_lo, s2
	s_mov_b32 s2, -1
	s_and_saveexec_b32 s3, s4
	s_cbranch_execz .LBB10_2
; %bb.1:
	s_wait_loadcnt_dscnt 0x0
	v_cmp_neq_f64_e32 vcc_lo, 1.0, v[2:3]
	v_cmp_neq_f64_e64 s2, 0, v[4:5]
	s_or_b32 s2, vcc_lo, s2
	s_delay_alu instid0(SALU_CYCLE_1)
	s_or_not1_b32 s2, s2, exec_lo
.LBB10_2:
	s_or_b32 exec_lo, exec_lo, s3
	s_and_saveexec_b32 s3, s2
	s_cbranch_execz .LBB10_44
; %bb.3:
	s_load_b128 s[16:19], s[0:1], 0x0
	s_bfe_u32 s2, ttmp6, 0x4000c
	s_and_b32 s3, ttmp6, 15
	s_add_co_i32 s2, s2, 1
	s_mov_b32 s22, 0
	s_mul_i32 s4, ttmp9, s2
	s_getreg_b32 s2, hwreg(HW_REG_IB_STS2, 6, 4)
	s_add_co_i32 s3, s3, s4
	s_cmp_eq_u32 s2, 0
	s_mov_b32 s7, 0
	s_cselect_b32 s10, ttmp9, s3
	s_wait_kmcnt 0x0
	s_cmp_lt_i32 s10, s18
	s_cselect_b32 s24, -1, 0
	s_cmp_ge_i32 s10, s18
	s_cbranch_scc1 .LBB10_5
; %bb.4:
	s_load_b64 s[4:5], s[0:1], 0x20
	s_ashr_i32 s11, s10, 31
	s_delay_alu instid0(SALU_CYCLE_1)
	s_lshl_b64 s[12:13], s[10:11], 2
	s_wait_kmcnt 0x0
	s_add_nc_u64 s[4:5], s[4:5], s[12:13]
	s_load_b64 s[12:13], s[4:5], 0x0
	s_wait_kmcnt 0x0
	s_sub_co_i32 s22, s12, s6
	s_sub_co_i32 s7, s13, s6
.LBB10_5:
	s_bfe_u32 s3, ttmp6, 0x40010
	s_load_b64 s[20:21], s[0:1], 0x38
	s_add_co_i32 s3, s3, 1
	s_bfe_u32 s4, ttmp6, 0x40004
	s_mul_i32 s3, ttmp7, s3
	v_bfe_u32 v24, v0, 10, 10
	s_add_co_i32 s4, s4, s3
	s_cmp_eq_u32 s2, 0
	v_and_b32_e32 v30, 0x3ff, v0
	s_cselect_b32 s2, ttmp7, s4
	v_mov_b64_e32 v[18:19], 0
	v_lshl_add_u32 v14, s2, 5, v24
	v_mov_b64_e32 v[16:17], 0
	v_mov_b64_e32 v[12:13], 0
	v_mov_b64_e32 v[20:21], 0
	s_cmp_ge_i32 s22, s7
	v_add_nc_u32_e32 v0, 16, v14
	v_cmp_gt_i32_e64 s3, s19, v14
	s_wait_kmcnt 0x0
	v_cmp_gt_i32_e64 s4, s20, v30
	s_delay_alu instid0(VALU_DEP_3)
	v_cmp_gt_i32_e64 s2, s19, v0
	s_cbranch_scc1 .LBB10_33
; %bb.6:
	v_dual_ashrrev_i32 v15, 31, v14 :: v_dual_ashrrev_i32 v1, 31, v0
	v_cmp_gt_i32_e32 vcc_lo, s21, v24
	v_mad_u32 v12, s20, v24, v30
	v_mad_u32 v13, s21, v30, v24
	s_delay_alu instid0(VALU_DEP_4)
	v_mul_u64_e32 v[10:11], s[8:9], v[14:15]
	v_mul_u64_e32 v[22:23], s[8:9], v[0:1]
	s_clause 0x1
	s_load_b128 s[12:15], s[0:1], 0x28
	s_load_b64 s[18:19], s[0:1], 0x40
	s_and_b32 s11, s4, vcc_lo
	s_cmp_lg_u32 s17, 0x6f
	v_lshl_add_u32 v32, v30, 8, 0x2000
	s_cselect_b32 s17, -1, 0
	s_cmp_eq_u32 s16, 0
	v_mov_b64_e32 v[20:21], 0
	s_cselect_b32 vcc_lo, -1, 0
	v_dual_cndmask_b32 v36, v12, v13 :: v_dual_lshlrev_b32 v31, 8, v24
	v_mov_b64_e32 v[12:13], 0
	v_mov_b64_e32 v[16:17], 0
	;; [unrolled: 1-line block ×3, first 2 shown]
	s_delay_alu instid0(VALU_DEP_4)
	v_lshl_add_u32 v33, v30, 4, v31
	s_cmp_gt_i32 s21, 0
	v_cmp_gt_i32_e64 s5, s21, v30
	v_lshl_add_u32 v34, v24, 4, v32
	v_add_nc_u32_e32 v37, 0x1000, v31
	v_add_nc_u32_e32 v35, 0x1000, v33
	s_cselect_b32 s23, -1, 0
	s_mul_i32 s16, s21, s20
	s_and_b32 s25, s3, s23
	s_and_b32 s26, s2, s23
	s_branch .LBB10_9
.LBB10_7:                               ;   in Loop: Header=BB10_9 Depth=1
	s_or_b32 exec_lo, exec_lo, s27
.LBB10_8:                               ;   in Loop: Header=BB10_9 Depth=1
	s_delay_alu instid0(SALU_CYCLE_1) | instskip(SKIP_1) | instid1(SALU_CYCLE_1)
	s_or_b32 exec_lo, exec_lo, s23
	s_add_co_i32 s22, s22, 1
	s_cmp_ge_i32 s22, s7
	s_barrier_signal -1
	s_barrier_wait -1
	s_cbranch_scc1 .LBB10_33
.LBB10_9:                               ; =>This Loop Header: Depth=1
                                        ;     Child Loop BB10_29 Depth 2
                                        ;     Child Loop BB10_32 Depth 2
	s_and_saveexec_b32 s27, s5
	s_cbranch_execz .LBB10_24
; %bb.10:                               ;   in Loop: Header=BB10_9 Depth=1
	s_ashr_i32 s23, s22, 31
	s_and_not1_b32 vcc_lo, exec_lo, s17
	s_lshl_b64 s[28:29], s[22:23], 2
	s_wait_kmcnt 0x0
	s_add_nc_u64 s[28:29], s[12:13], s[28:29]
	s_load_b32 s23, s[28:29], 0x0
	s_wait_kmcnt 0x0
	s_sub_co_i32 s23, s23, s6
	s_delay_alu instid0(SALU_CYCLE_1) | instskip(NEXT) | instid1(VALU_DEP_1)
	v_mad_u32 v24, s23, s21, v30
	v_ashrrev_i32_e32 v25, 31, v24
	s_cbranch_vccnz .LBB10_16
; %bb.11:                               ;   in Loop: Header=BB10_9 Depth=1
	s_delay_alu instid0(VALU_DEP_1) | instskip(NEXT) | instid1(VALU_DEP_1)
	v_mul_u64_e32 v[26:27], s[8:9], v[24:25]
	v_lshl_add_u64 v[28:29], v[26:27], 4, s[18:19]
	s_and_saveexec_b32 s23, s3
	s_cbranch_execz .LBB10_13
; %bb.12:                               ;   in Loop: Header=BB10_9 Depth=1
	s_delay_alu instid0(VALU_DEP_1)
	v_lshl_add_u64 v[26:27], v[14:15], 4, v[28:29]
	global_load_b128 v[38:41], v[26:27], off
	s_wait_loadcnt 0x0
	ds_store_2addr_b64 v33, v[38:39], v[40:41] offset1:1
.LBB10_13:                              ;   in Loop: Header=BB10_9 Depth=1
	s_or_b32 exec_lo, exec_lo, s23
	s_mov_b32 s28, 0
	s_mov_b32 s23, 0
                                        ; implicit-def: $vgpr26_vgpr27
	s_and_saveexec_b32 s29, s2
	s_delay_alu instid0(SALU_CYCLE_1)
	s_xor_b32 s29, exec_lo, s29
; %bb.14:                               ;   in Loop: Header=BB10_9 Depth=1
	v_lshl_add_u64 v[26:27], v[0:1], 4, v[28:29]
	s_mov_b32 s23, exec_lo
; %bb.15:                               ;   in Loop: Header=BB10_9 Depth=1
	s_or_b32 exec_lo, exec_lo, s29
	s_delay_alu instid0(SALU_CYCLE_1)
	s_and_b32 vcc_lo, exec_lo, s28
	s_cbranch_vccnz .LBB10_17
	s_branch .LBB10_22
.LBB10_16:                              ;   in Loop: Header=BB10_9 Depth=1
	s_mov_b32 s23, 0
                                        ; implicit-def: $vgpr26_vgpr27
	s_cbranch_execz .LBB10_22
.LBB10_17:                              ;   in Loop: Header=BB10_9 Depth=1
	s_delay_alu instid0(VALU_DEP_1)
	v_lshl_add_u64 v[24:25], v[24:25], 4, s[18:19]
	s_and_saveexec_b32 s28, s3
	s_cbranch_execz .LBB10_19
; %bb.18:                               ;   in Loop: Header=BB10_9 Depth=1
	s_delay_alu instid0(VALU_DEP_1)
	v_lshl_add_u64 v[26:27], v[10:11], 4, v[24:25]
	global_load_b128 v[26:29], v[26:27], off
	s_wait_loadcnt 0x0
	ds_store_2addr_b64 v33, v[26:27], v[28:29] offset1:1
.LBB10_19:                              ;   in Loop: Header=BB10_9 Depth=1
	s_or_b32 exec_lo, exec_lo, s28
                                        ; implicit-def: $vgpr26_vgpr27
	s_and_saveexec_b32 s28, s2
; %bb.20:                               ;   in Loop: Header=BB10_9 Depth=1
	v_lshl_add_u64 v[26:27], v[22:23], 4, v[24:25]
	s_or_b32 s23, s23, exec_lo
; %bb.21:                               ;   in Loop: Header=BB10_9 Depth=1
	s_or_b32 exec_lo, exec_lo, s28
.LBB10_22:                              ;   in Loop: Header=BB10_9 Depth=1
	s_delay_alu instid0(SALU_CYCLE_1)
	s_and_b32 exec_lo, exec_lo, s23
	s_cbranch_execz .LBB10_24
; %bb.23:                               ;   in Loop: Header=BB10_9 Depth=1
	global_load_b128 v[24:27], v[26:27], off
	s_wait_loadcnt 0x0
	ds_store_2addr_b64 v35, v[24:25], v[26:27] offset1:1
.LBB10_24:                              ;   in Loop: Header=BB10_9 Depth=1
	s_or_b32 exec_lo, exec_lo, s27
	s_and_saveexec_b32 s23, s11
	s_cbranch_execz .LBB10_26
; %bb.25:                               ;   in Loop: Header=BB10_9 Depth=1
	v_mad_u32 v24, s16, s22, v36
	s_wait_kmcnt 0x0
	global_load_b128 v[24:27], v24, s[14:15] scale_offset
	s_wait_loadcnt 0x0
	ds_store_2addr_b64 v34, v[24:25], v[26:27] offset1:1
.LBB10_26:                              ;   in Loop: Header=BB10_9 Depth=1
	s_or_b32 exec_lo, exec_lo, s23
	s_wait_loadcnt_dscnt 0x0
	s_barrier_signal -1
	s_barrier_wait -1
	s_and_saveexec_b32 s23, s4
	s_cbranch_execz .LBB10_8
; %bb.27:                               ;   in Loop: Header=BB10_9 Depth=1
	s_and_saveexec_b32 s27, s25
	s_cbranch_execz .LBB10_30
; %bb.28:                               ;   in Loop: Header=BB10_9 Depth=1
	v_dual_mov_b32 v24, v32 :: v_dual_mov_b32 v25, v31
	s_mov_b32 s28, s21
.LBB10_29:                              ;   Parent Loop BB10_9 Depth=1
                                        ; =>  This Inner Loop Header: Depth=2
	ds_load_b128 v[26:29], v24
	ds_load_b128 v[38:41], v25
	v_dual_add_nc_u32 v25, 16, v25 :: v_dual_add_nc_u32 v24, 16, v24
	s_add_co_i32 s28, s28, -1
	s_delay_alu instid0(SALU_CYCLE_1) | instskip(SKIP_3) | instid1(VALU_DEP_2)
	s_cmp_lg_u32 s28, 0
	s_wait_dscnt 0x0
	v_fmac_f64_e32 v[20:21], v[26:27], v[38:39]
	v_fmac_f64_e32 v[12:13], v[28:29], v[38:39]
	v_fma_f64 v[20:21], -v[28:29], v[40:41], v[20:21]
	s_delay_alu instid0(VALU_DEP_2)
	v_fmac_f64_e32 v[12:13], v[26:27], v[40:41]
	s_cbranch_scc1 .LBB10_29
.LBB10_30:                              ;   in Loop: Header=BB10_9 Depth=1
	s_or_b32 exec_lo, exec_lo, s27
	s_and_saveexec_b32 s27, s26
	s_cbranch_execz .LBB10_7
; %bb.31:                               ;   in Loop: Header=BB10_9 Depth=1
	v_dual_mov_b32 v24, v32 :: v_dual_mov_b32 v25, v37
	s_mov_b32 s28, s21
.LBB10_32:                              ;   Parent Loop BB10_9 Depth=1
                                        ; =>  This Inner Loop Header: Depth=2
	ds_load_b128 v[26:29], v24
	ds_load_b128 v[38:41], v25
	v_dual_add_nc_u32 v25, 16, v25 :: v_dual_add_nc_u32 v24, 16, v24
	s_add_co_i32 s28, s28, -1
	s_delay_alu instid0(SALU_CYCLE_1) | instskip(SKIP_3) | instid1(VALU_DEP_2)
	s_cmp_lg_u32 s28, 0
	s_wait_dscnt 0x0
	v_fmac_f64_e32 v[16:17], v[26:27], v[38:39]
	v_fmac_f64_e32 v[18:19], v[28:29], v[38:39]
	v_fma_f64 v[16:17], -v[28:29], v[40:41], v[16:17]
	s_delay_alu instid0(VALU_DEP_2)
	v_fmac_f64_e32 v[18:19], v[26:27], v[40:41]
	s_cbranch_scc1 .LBB10_32
	s_branch .LBB10_7
.LBB10_33:
	s_load_b64 s[6:7], s[0:1], 0x60
	s_and_b32 s4, s24, s4
	s_delay_alu instid0(SALU_CYCLE_1)
	s_and_b32 exec_lo, exec_lo, s4
	s_cbranch_execz .LBB10_44
; %bb.34:
	s_wait_loadcnt_dscnt 0x0
	v_cmp_neq_f64_e32 vcc_lo, 0, v[2:3]
	v_cmp_neq_f64_e64 s4, 0, v[4:5]
	v_mad_u32 v10, s20, s10, v30
	s_wait_xcnt 0x0
	s_load_b64 s[0:1], s[0:1], 0x68
	s_delay_alu instid0(VALU_DEP_1) | instskip(SKIP_1) | instid1(VALU_DEP_1)
	v_ashrrev_i32_e32 v11, 31, v10
	s_wait_kmcnt 0x0
	v_lshl_add_u64 v[22:23], v[10:11], 4, s[6:7]
	s_or_b32 s4, vcc_lo, s4
	s_and_saveexec_b32 s5, s3
	s_cbranch_execz .LBB10_39
; %bb.35:
	v_dual_mul_f64 v[10:11], v[12:13], -v[8:9] :: v_dual_ashrrev_i32 v15, 31, v14
	v_mul_f64_e32 v[12:13], v[6:7], v[12:13]
	s_delay_alu instid0(VALU_DEP_2) | instskip(NEXT) | instid1(VALU_DEP_2)
	v_fmac_f64_e32 v[10:11], v[6:7], v[20:21]
	v_fmac_f64_e32 v[12:13], v[8:9], v[20:21]
	s_and_saveexec_b32 s3, s4
	s_delay_alu instid0(SALU_CYCLE_1)
	s_xor_b32 s3, exec_lo, s3
	s_cbranch_execz .LBB10_37
; %bb.36:
	v_mul_u64_e32 v[14:15], s[0:1], v[14:15]
	s_delay_alu instid0(VALU_DEP_1) | instskip(SKIP_4) | instid1(VALU_DEP_2)
	v_lshl_add_u64 v[14:15], v[14:15], 4, v[22:23]
	global_load_b128 v[24:27], v[14:15], off
	s_wait_loadcnt 0x0
	v_fmac_f64_e32 v[10:11], v[2:3], v[24:25]
	v_fmac_f64_e32 v[12:13], v[4:5], v[24:25]
	v_fma_f64 v[10:11], -v[4:5], v[26:27], v[10:11]
	s_delay_alu instid0(VALU_DEP_2)
	v_fmac_f64_e32 v[12:13], v[2:3], v[26:27]
	global_store_b128 v[14:15], v[10:13], off
                                        ; implicit-def: $vgpr14
                                        ; implicit-def: $vgpr10_vgpr11
.LBB10_37:
	s_wait_xcnt 0x0
	s_and_not1_saveexec_b32 s3, s3
	s_cbranch_execz .LBB10_39
; %bb.38:
	v_mul_u64_e32 v[14:15], s[0:1], v[14:15]
	s_delay_alu instid0(VALU_DEP_1)
	v_lshl_add_u64 v[14:15], v[14:15], 4, v[22:23]
	global_store_b128 v[14:15], v[10:13], off
.LBB10_39:
	s_wait_xcnt 0x0
	s_or_b32 exec_lo, exec_lo, s5
	s_delay_alu instid0(SALU_CYCLE_1)
	s_and_b32 exec_lo, exec_lo, s2
	s_cbranch_execz .LBB10_44
; %bb.40:
	v_mul_f64_e64 v[10:11], v[18:19], -v[8:9]
	v_dual_mul_f64 v[12:13], v[6:7], v[18:19] :: v_dual_ashrrev_i32 v1, 31, v0
	s_delay_alu instid0(VALU_DEP_2) | instskip(NEXT) | instid1(VALU_DEP_2)
	v_fmac_f64_e32 v[10:11], v[6:7], v[16:17]
	v_fmac_f64_e32 v[12:13], v[8:9], v[16:17]
	s_and_saveexec_b32 s2, s4
	s_delay_alu instid0(SALU_CYCLE_1)
	s_xor_b32 s2, exec_lo, s2
	s_cbranch_execz .LBB10_42
; %bb.41:
	v_mul_u64_e32 v[0:1], s[0:1], v[0:1]
	s_delay_alu instid0(VALU_DEP_1) | instskip(SKIP_4) | instid1(VALU_DEP_2)
	v_lshl_add_u64 v[0:1], v[0:1], 4, v[22:23]
                                        ; implicit-def: $vgpr22_vgpr23
	global_load_b128 v[6:9], v[0:1], off
	s_wait_loadcnt 0x0
	v_fmac_f64_e32 v[10:11], v[2:3], v[6:7]
	v_fmac_f64_e32 v[12:13], v[4:5], v[6:7]
	v_fma_f64 v[10:11], -v[4:5], v[8:9], v[10:11]
	s_delay_alu instid0(VALU_DEP_2)
	v_fmac_f64_e32 v[12:13], v[2:3], v[8:9]
	global_store_b128 v[0:1], v[10:13], off
                                        ; implicit-def: $vgpr0
                                        ; implicit-def: $vgpr10_vgpr11
.LBB10_42:
	s_wait_xcnt 0x0
	s_and_not1_saveexec_b32 s2, s2
	s_cbranch_execz .LBB10_44
; %bb.43:
	v_mul_u64_e32 v[0:1], s[0:1], v[0:1]
	s_delay_alu instid0(VALU_DEP_1)
	v_lshl_add_u64 v[0:1], v[0:1], 4, v[22:23]
	global_store_b128 v[0:1], v[10:13], off
.LBB10_44:
	s_endpgm
	.section	.rodata,"a",@progbits
	.p2align	6, 0x0
	.amdhsa_kernel _ZN9rocsparseL33gebsrmm_large_blockdim_kernel_extILi16ELi16ELi2E21rocsparse_complex_numIdEEEv20rocsparse_direction_20rocsparse_operation_iiNS_24const_host_device_scalarIT2_EEPKiS9_PKS6_iiSB_lS7_PS6_l21rocsparse_index_base_b
		.amdhsa_group_segment_fixed_size 12288
		.amdhsa_private_segment_fixed_size 0
		.amdhsa_kernarg_size 120
		.amdhsa_user_sgpr_count 2
		.amdhsa_user_sgpr_dispatch_ptr 0
		.amdhsa_user_sgpr_queue_ptr 0
		.amdhsa_user_sgpr_kernarg_segment_ptr 1
		.amdhsa_user_sgpr_dispatch_id 0
		.amdhsa_user_sgpr_kernarg_preload_length 0
		.amdhsa_user_sgpr_kernarg_preload_offset 0
		.amdhsa_user_sgpr_private_segment_size 0
		.amdhsa_wavefront_size32 1
		.amdhsa_uses_dynamic_stack 0
		.amdhsa_enable_private_segment 0
		.amdhsa_system_sgpr_workgroup_id_x 1
		.amdhsa_system_sgpr_workgroup_id_y 1
		.amdhsa_system_sgpr_workgroup_id_z 0
		.amdhsa_system_sgpr_workgroup_info 0
		.amdhsa_system_vgpr_workitem_id 1
		.amdhsa_next_free_vgpr 42
		.amdhsa_next_free_sgpr 30
		.amdhsa_named_barrier_count 0
		.amdhsa_reserve_vcc 1
		.amdhsa_float_round_mode_32 0
		.amdhsa_float_round_mode_16_64 0
		.amdhsa_float_denorm_mode_32 3
		.amdhsa_float_denorm_mode_16_64 3
		.amdhsa_fp16_overflow 0
		.amdhsa_memory_ordered 1
		.amdhsa_forward_progress 1
		.amdhsa_inst_pref_size 13
		.amdhsa_round_robin_scheduling 0
		.amdhsa_exception_fp_ieee_invalid_op 0
		.amdhsa_exception_fp_denorm_src 0
		.amdhsa_exception_fp_ieee_div_zero 0
		.amdhsa_exception_fp_ieee_overflow 0
		.amdhsa_exception_fp_ieee_underflow 0
		.amdhsa_exception_fp_ieee_inexact 0
		.amdhsa_exception_int_div_zero 0
	.end_amdhsa_kernel
	.section	.text._ZN9rocsparseL33gebsrmm_large_blockdim_kernel_extILi16ELi16ELi2E21rocsparse_complex_numIdEEEv20rocsparse_direction_20rocsparse_operation_iiNS_24const_host_device_scalarIT2_EEPKiS9_PKS6_iiSB_lS7_PS6_l21rocsparse_index_base_b,"axG",@progbits,_ZN9rocsparseL33gebsrmm_large_blockdim_kernel_extILi16ELi16ELi2E21rocsparse_complex_numIdEEEv20rocsparse_direction_20rocsparse_operation_iiNS_24const_host_device_scalarIT2_EEPKiS9_PKS6_iiSB_lS7_PS6_l21rocsparse_index_base_b,comdat
.Lfunc_end10:
	.size	_ZN9rocsparseL33gebsrmm_large_blockdim_kernel_extILi16ELi16ELi2E21rocsparse_complex_numIdEEEv20rocsparse_direction_20rocsparse_operation_iiNS_24const_host_device_scalarIT2_EEPKiS9_PKS6_iiSB_lS7_PS6_l21rocsparse_index_base_b, .Lfunc_end10-_ZN9rocsparseL33gebsrmm_large_blockdim_kernel_extILi16ELi16ELi2E21rocsparse_complex_numIdEEEv20rocsparse_direction_20rocsparse_operation_iiNS_24const_host_device_scalarIT2_EEPKiS9_PKS6_iiSB_lS7_PS6_l21rocsparse_index_base_b
                                        ; -- End function
	.set _ZN9rocsparseL33gebsrmm_large_blockdim_kernel_extILi16ELi16ELi2E21rocsparse_complex_numIdEEEv20rocsparse_direction_20rocsparse_operation_iiNS_24const_host_device_scalarIT2_EEPKiS9_PKS6_iiSB_lS7_PS6_l21rocsparse_index_base_b.num_vgpr, 42
	.set _ZN9rocsparseL33gebsrmm_large_blockdim_kernel_extILi16ELi16ELi2E21rocsparse_complex_numIdEEEv20rocsparse_direction_20rocsparse_operation_iiNS_24const_host_device_scalarIT2_EEPKiS9_PKS6_iiSB_lS7_PS6_l21rocsparse_index_base_b.num_agpr, 0
	.set _ZN9rocsparseL33gebsrmm_large_blockdim_kernel_extILi16ELi16ELi2E21rocsparse_complex_numIdEEEv20rocsparse_direction_20rocsparse_operation_iiNS_24const_host_device_scalarIT2_EEPKiS9_PKS6_iiSB_lS7_PS6_l21rocsparse_index_base_b.numbered_sgpr, 30
	.set _ZN9rocsparseL33gebsrmm_large_blockdim_kernel_extILi16ELi16ELi2E21rocsparse_complex_numIdEEEv20rocsparse_direction_20rocsparse_operation_iiNS_24const_host_device_scalarIT2_EEPKiS9_PKS6_iiSB_lS7_PS6_l21rocsparse_index_base_b.num_named_barrier, 0
	.set _ZN9rocsparseL33gebsrmm_large_blockdim_kernel_extILi16ELi16ELi2E21rocsparse_complex_numIdEEEv20rocsparse_direction_20rocsparse_operation_iiNS_24const_host_device_scalarIT2_EEPKiS9_PKS6_iiSB_lS7_PS6_l21rocsparse_index_base_b.private_seg_size, 0
	.set _ZN9rocsparseL33gebsrmm_large_blockdim_kernel_extILi16ELi16ELi2E21rocsparse_complex_numIdEEEv20rocsparse_direction_20rocsparse_operation_iiNS_24const_host_device_scalarIT2_EEPKiS9_PKS6_iiSB_lS7_PS6_l21rocsparse_index_base_b.uses_vcc, 1
	.set _ZN9rocsparseL33gebsrmm_large_blockdim_kernel_extILi16ELi16ELi2E21rocsparse_complex_numIdEEEv20rocsparse_direction_20rocsparse_operation_iiNS_24const_host_device_scalarIT2_EEPKiS9_PKS6_iiSB_lS7_PS6_l21rocsparse_index_base_b.uses_flat_scratch, 0
	.set _ZN9rocsparseL33gebsrmm_large_blockdim_kernel_extILi16ELi16ELi2E21rocsparse_complex_numIdEEEv20rocsparse_direction_20rocsparse_operation_iiNS_24const_host_device_scalarIT2_EEPKiS9_PKS6_iiSB_lS7_PS6_l21rocsparse_index_base_b.has_dyn_sized_stack, 0
	.set _ZN9rocsparseL33gebsrmm_large_blockdim_kernel_extILi16ELi16ELi2E21rocsparse_complex_numIdEEEv20rocsparse_direction_20rocsparse_operation_iiNS_24const_host_device_scalarIT2_EEPKiS9_PKS6_iiSB_lS7_PS6_l21rocsparse_index_base_b.has_recursion, 0
	.set _ZN9rocsparseL33gebsrmm_large_blockdim_kernel_extILi16ELi16ELi2E21rocsparse_complex_numIdEEEv20rocsparse_direction_20rocsparse_operation_iiNS_24const_host_device_scalarIT2_EEPKiS9_PKS6_iiSB_lS7_PS6_l21rocsparse_index_base_b.has_indirect_call, 0
	.section	.AMDGPU.csdata,"",@progbits
; Kernel info:
; codeLenInByte = 1640
; TotalNumSgprs: 32
; NumVgprs: 42
; ScratchSize: 0
; MemoryBound: 0
; FloatMode: 240
; IeeeMode: 1
; LDSByteSize: 12288 bytes/workgroup (compile time only)
; SGPRBlocks: 0
; VGPRBlocks: 2
; NumSGPRsForWavesPerEU: 32
; NumVGPRsForWavesPerEU: 42
; NamedBarCnt: 0
; Occupancy: 16
; WaveLimiterHint : 0
; COMPUTE_PGM_RSRC2:SCRATCH_EN: 0
; COMPUTE_PGM_RSRC2:USER_SGPR: 2
; COMPUTE_PGM_RSRC2:TRAP_HANDLER: 0
; COMPUTE_PGM_RSRC2:TGID_X_EN: 1
; COMPUTE_PGM_RSRC2:TGID_Y_EN: 1
; COMPUTE_PGM_RSRC2:TGID_Z_EN: 0
; COMPUTE_PGM_RSRC2:TIDIG_COMP_CNT: 1
	.section	.text._ZN9rocsparseL33gebsrmm_large_blockdim_kernel_extILi32ELi32ELi2E21rocsparse_complex_numIdEEEv20rocsparse_direction_20rocsparse_operation_iiNS_24const_host_device_scalarIT2_EEPKiS9_PKS6_iiSB_lS7_PS6_l21rocsparse_index_base_b,"axG",@progbits,_ZN9rocsparseL33gebsrmm_large_blockdim_kernel_extILi32ELi32ELi2E21rocsparse_complex_numIdEEEv20rocsparse_direction_20rocsparse_operation_iiNS_24const_host_device_scalarIT2_EEPKiS9_PKS6_iiSB_lS7_PS6_l21rocsparse_index_base_b,comdat
	.globl	_ZN9rocsparseL33gebsrmm_large_blockdim_kernel_extILi32ELi32ELi2E21rocsparse_complex_numIdEEEv20rocsparse_direction_20rocsparse_operation_iiNS_24const_host_device_scalarIT2_EEPKiS9_PKS6_iiSB_lS7_PS6_l21rocsparse_index_base_b ; -- Begin function _ZN9rocsparseL33gebsrmm_large_blockdim_kernel_extILi32ELi32ELi2E21rocsparse_complex_numIdEEEv20rocsparse_direction_20rocsparse_operation_iiNS_24const_host_device_scalarIT2_EEPKiS9_PKS6_iiSB_lS7_PS6_l21rocsparse_index_base_b
	.p2align	8
	.type	_ZN9rocsparseL33gebsrmm_large_blockdim_kernel_extILi32ELi32ELi2E21rocsparse_complex_numIdEEEv20rocsparse_direction_20rocsparse_operation_iiNS_24const_host_device_scalarIT2_EEPKiS9_PKS6_iiSB_lS7_PS6_l21rocsparse_index_base_b,@function
_ZN9rocsparseL33gebsrmm_large_blockdim_kernel_extILi32ELi32ELi2E21rocsparse_complex_numIdEEEv20rocsparse_direction_20rocsparse_operation_iiNS_24const_host_device_scalarIT2_EEPKiS9_PKS6_iiSB_lS7_PS6_l21rocsparse_index_base_b: ; @_ZN9rocsparseL33gebsrmm_large_blockdim_kernel_extILi32ELi32ELi2E21rocsparse_complex_numIdEEEv20rocsparse_direction_20rocsparse_operation_iiNS_24const_host_device_scalarIT2_EEPKiS9_PKS6_iiSB_lS7_PS6_l21rocsparse_index_base_b
; %bb.0:
	s_clause 0x1
	s_load_b64 s[6:7], s[0:1], 0x70
	s_load_b64 s[2:3], s[0:1], 0x10
	v_mov_b32_e32 v1, 0
	s_add_nc_u64 s[4:5], s[0:1], 16
	s_load_b128 s[8:11], s[0:1], 0x48
	s_wait_kmcnt 0x0
	s_bitcmp1_b32 s7, 0
	s_cselect_b32 s3, s5, s3
	s_cselect_b32 s2, s4, s2
	flat_load_b128 v[6:9], v1, s[2:3]
	s_wait_xcnt 0x0
	s_add_nc_u64 s[2:3], s[0:1], 0x50
	s_delay_alu instid0(SALU_CYCLE_1)
	s_cselect_b32 s3, s3, s11
	s_cselect_b32 s2, s2, s10
	flat_load_b128 v[2:5], v1, s[2:3]
	s_wait_loadcnt_dscnt 0x101
	v_cmp_eq_f64_e32 vcc_lo, 0, v[6:7]
	s_wait_xcnt 0x0
	v_cmp_eq_f64_e64 s2, 0, v[8:9]
	s_and_b32 s4, vcc_lo, s2
	s_mov_b32 s2, -1
	s_and_saveexec_b32 s3, s4
	s_cbranch_execz .LBB11_2
; %bb.1:
	s_wait_loadcnt_dscnt 0x0
	v_cmp_neq_f64_e32 vcc_lo, 1.0, v[2:3]
	v_cmp_neq_f64_e64 s2, 0, v[4:5]
	s_or_b32 s2, vcc_lo, s2
	s_delay_alu instid0(SALU_CYCLE_1)
	s_or_not1_b32 s2, s2, exec_lo
.LBB11_2:
	s_or_b32 exec_lo, exec_lo, s3
	s_and_saveexec_b32 s3, s2
	s_cbranch_execz .LBB11_44
; %bb.3:
	s_load_b128 s[16:19], s[0:1], 0x0
	s_bfe_u32 s2, ttmp6, 0x4000c
	s_and_b32 s3, ttmp6, 15
	s_add_co_i32 s2, s2, 1
	s_mov_b32 s22, 0
	s_mul_i32 s4, ttmp9, s2
	s_getreg_b32 s2, hwreg(HW_REG_IB_STS2, 6, 4)
	s_add_co_i32 s3, s3, s4
	s_cmp_eq_u32 s2, 0
	s_mov_b32 s7, 0
	s_cselect_b32 s10, ttmp9, s3
	s_wait_kmcnt 0x0
	s_cmp_lt_i32 s10, s18
	s_cselect_b32 s24, -1, 0
	s_cmp_ge_i32 s10, s18
	s_cbranch_scc1 .LBB11_5
; %bb.4:
	s_load_b64 s[4:5], s[0:1], 0x20
	s_ashr_i32 s11, s10, 31
	s_delay_alu instid0(SALU_CYCLE_1)
	s_lshl_b64 s[12:13], s[10:11], 2
	s_wait_kmcnt 0x0
	s_add_nc_u64 s[4:5], s[4:5], s[12:13]
	s_load_b64 s[12:13], s[4:5], 0x0
	s_wait_kmcnt 0x0
	s_sub_co_i32 s22, s12, s6
	s_sub_co_i32 s7, s13, s6
.LBB11_5:
	s_bfe_u32 s3, ttmp6, 0x40010
	s_load_b64 s[20:21], s[0:1], 0x38
	s_add_co_i32 s3, s3, 1
	s_bfe_u32 s4, ttmp6, 0x40004
	s_mul_i32 s3, ttmp7, s3
	v_bfe_u32 v24, v0, 10, 10
	s_add_co_i32 s4, s4, s3
	s_cmp_eq_u32 s2, 0
	v_and_b32_e32 v30, 0x3ff, v0
	s_cselect_b32 s2, ttmp7, s4
	v_mov_b64_e32 v[18:19], 0
	v_lshl_add_u32 v14, s2, 6, v24
	v_mov_b64_e32 v[16:17], 0
	v_mov_b64_e32 v[12:13], 0
	;; [unrolled: 1-line block ×3, first 2 shown]
	s_cmp_ge_i32 s22, s7
	v_add_nc_u32_e32 v0, 32, v14
	v_cmp_gt_i32_e64 s3, s19, v14
	s_wait_kmcnt 0x0
	v_cmp_gt_i32_e64 s4, s20, v30
	s_delay_alu instid0(VALU_DEP_3)
	v_cmp_gt_i32_e64 s2, s19, v0
	s_cbranch_scc1 .LBB11_33
; %bb.6:
	v_dual_ashrrev_i32 v15, 31, v14 :: v_dual_ashrrev_i32 v1, 31, v0
	v_cmp_gt_i32_e32 vcc_lo, s21, v24
	v_mad_u32 v12, s20, v24, v30
	v_mad_u32 v13, s21, v30, v24
	s_delay_alu instid0(VALU_DEP_4)
	v_mul_u64_e32 v[10:11], s[8:9], v[14:15]
	v_mul_u64_e32 v[22:23], s[8:9], v[0:1]
	s_clause 0x1
	s_load_b128 s[12:15], s[0:1], 0x28
	s_load_b64 s[18:19], s[0:1], 0x40
	s_and_b32 s11, s4, vcc_lo
	s_cmp_lg_u32 s17, 0x6f
	v_lshl_add_u32 v32, v30, 9, 0x8000
	s_cselect_b32 s17, -1, 0
	s_cmp_eq_u32 s16, 0
	v_mov_b64_e32 v[20:21], 0
	s_cselect_b32 vcc_lo, -1, 0
	v_dual_cndmask_b32 v36, v12, v13 :: v_dual_lshlrev_b32 v31, 9, v24
	v_mov_b64_e32 v[12:13], 0
	v_mov_b64_e32 v[16:17], 0
	;; [unrolled: 1-line block ×3, first 2 shown]
	s_delay_alu instid0(VALU_DEP_4)
	v_lshl_add_u32 v33, v30, 4, v31
	s_cmp_gt_i32 s21, 0
	v_cmp_gt_i32_e64 s5, s21, v30
	v_lshl_add_u32 v34, v24, 4, v32
	v_add_nc_u32_e32 v37, 0x4000, v31
	v_add_nc_u32_e32 v35, 0x4000, v33
	s_cselect_b32 s23, -1, 0
	s_mul_i32 s16, s21, s20
	s_and_b32 s25, s3, s23
	s_and_b32 s26, s2, s23
	s_branch .LBB11_9
.LBB11_7:                               ;   in Loop: Header=BB11_9 Depth=1
	s_or_b32 exec_lo, exec_lo, s27
.LBB11_8:                               ;   in Loop: Header=BB11_9 Depth=1
	s_delay_alu instid0(SALU_CYCLE_1) | instskip(SKIP_1) | instid1(SALU_CYCLE_1)
	s_or_b32 exec_lo, exec_lo, s23
	s_add_co_i32 s22, s22, 1
	s_cmp_ge_i32 s22, s7
	s_barrier_signal -1
	s_barrier_wait -1
	s_cbranch_scc1 .LBB11_33
.LBB11_9:                               ; =>This Loop Header: Depth=1
                                        ;     Child Loop BB11_29 Depth 2
                                        ;     Child Loop BB11_32 Depth 2
	s_and_saveexec_b32 s27, s5
	s_cbranch_execz .LBB11_24
; %bb.10:                               ;   in Loop: Header=BB11_9 Depth=1
	s_ashr_i32 s23, s22, 31
	s_and_not1_b32 vcc_lo, exec_lo, s17
	s_lshl_b64 s[28:29], s[22:23], 2
	s_wait_kmcnt 0x0
	s_add_nc_u64 s[28:29], s[12:13], s[28:29]
	s_load_b32 s23, s[28:29], 0x0
	s_wait_kmcnt 0x0
	s_sub_co_i32 s23, s23, s6
	s_delay_alu instid0(SALU_CYCLE_1) | instskip(NEXT) | instid1(VALU_DEP_1)
	v_mad_u32 v24, s23, s21, v30
	v_ashrrev_i32_e32 v25, 31, v24
	s_cbranch_vccnz .LBB11_16
; %bb.11:                               ;   in Loop: Header=BB11_9 Depth=1
	s_delay_alu instid0(VALU_DEP_1) | instskip(NEXT) | instid1(VALU_DEP_1)
	v_mul_u64_e32 v[26:27], s[8:9], v[24:25]
	v_lshl_add_u64 v[28:29], v[26:27], 4, s[18:19]
	s_and_saveexec_b32 s23, s3
	s_cbranch_execz .LBB11_13
; %bb.12:                               ;   in Loop: Header=BB11_9 Depth=1
	s_delay_alu instid0(VALU_DEP_1)
	v_lshl_add_u64 v[26:27], v[14:15], 4, v[28:29]
	global_load_b128 v[38:41], v[26:27], off
	s_wait_loadcnt 0x0
	ds_store_2addr_b64 v33, v[38:39], v[40:41] offset1:1
.LBB11_13:                              ;   in Loop: Header=BB11_9 Depth=1
	s_or_b32 exec_lo, exec_lo, s23
	s_mov_b32 s28, 0
	s_mov_b32 s23, 0
                                        ; implicit-def: $vgpr26_vgpr27
	s_and_saveexec_b32 s29, s2
	s_delay_alu instid0(SALU_CYCLE_1)
	s_xor_b32 s29, exec_lo, s29
; %bb.14:                               ;   in Loop: Header=BB11_9 Depth=1
	v_lshl_add_u64 v[26:27], v[0:1], 4, v[28:29]
	s_mov_b32 s23, exec_lo
; %bb.15:                               ;   in Loop: Header=BB11_9 Depth=1
	s_or_b32 exec_lo, exec_lo, s29
	s_delay_alu instid0(SALU_CYCLE_1)
	s_and_b32 vcc_lo, exec_lo, s28
	s_cbranch_vccnz .LBB11_17
	s_branch .LBB11_22
.LBB11_16:                              ;   in Loop: Header=BB11_9 Depth=1
	s_mov_b32 s23, 0
                                        ; implicit-def: $vgpr26_vgpr27
	s_cbranch_execz .LBB11_22
.LBB11_17:                              ;   in Loop: Header=BB11_9 Depth=1
	s_delay_alu instid0(VALU_DEP_1)
	v_lshl_add_u64 v[24:25], v[24:25], 4, s[18:19]
	s_and_saveexec_b32 s28, s3
	s_cbranch_execz .LBB11_19
; %bb.18:                               ;   in Loop: Header=BB11_9 Depth=1
	s_delay_alu instid0(VALU_DEP_1)
	v_lshl_add_u64 v[26:27], v[10:11], 4, v[24:25]
	global_load_b128 v[26:29], v[26:27], off
	s_wait_loadcnt 0x0
	ds_store_2addr_b64 v33, v[26:27], v[28:29] offset1:1
.LBB11_19:                              ;   in Loop: Header=BB11_9 Depth=1
	s_or_b32 exec_lo, exec_lo, s28
                                        ; implicit-def: $vgpr26_vgpr27
	s_and_saveexec_b32 s28, s2
; %bb.20:                               ;   in Loop: Header=BB11_9 Depth=1
	v_lshl_add_u64 v[26:27], v[22:23], 4, v[24:25]
	s_or_b32 s23, s23, exec_lo
; %bb.21:                               ;   in Loop: Header=BB11_9 Depth=1
	s_or_b32 exec_lo, exec_lo, s28
.LBB11_22:                              ;   in Loop: Header=BB11_9 Depth=1
	s_delay_alu instid0(SALU_CYCLE_1)
	s_and_b32 exec_lo, exec_lo, s23
	s_cbranch_execz .LBB11_24
; %bb.23:                               ;   in Loop: Header=BB11_9 Depth=1
	global_load_b128 v[24:27], v[26:27], off
	s_wait_loadcnt 0x0
	ds_store_2addr_b64 v35, v[24:25], v[26:27] offset1:1
.LBB11_24:                              ;   in Loop: Header=BB11_9 Depth=1
	s_or_b32 exec_lo, exec_lo, s27
	s_and_saveexec_b32 s23, s11
	s_cbranch_execz .LBB11_26
; %bb.25:                               ;   in Loop: Header=BB11_9 Depth=1
	v_mad_u32 v24, s16, s22, v36
	s_wait_kmcnt 0x0
	global_load_b128 v[24:27], v24, s[14:15] scale_offset
	s_wait_loadcnt 0x0
	ds_store_2addr_b64 v34, v[24:25], v[26:27] offset1:1
.LBB11_26:                              ;   in Loop: Header=BB11_9 Depth=1
	s_or_b32 exec_lo, exec_lo, s23
	s_wait_loadcnt_dscnt 0x0
	s_barrier_signal -1
	s_barrier_wait -1
	s_and_saveexec_b32 s23, s4
	s_cbranch_execz .LBB11_8
; %bb.27:                               ;   in Loop: Header=BB11_9 Depth=1
	s_and_saveexec_b32 s27, s25
	s_cbranch_execz .LBB11_30
; %bb.28:                               ;   in Loop: Header=BB11_9 Depth=1
	v_dual_mov_b32 v24, v32 :: v_dual_mov_b32 v25, v31
	s_mov_b32 s28, s21
.LBB11_29:                              ;   Parent Loop BB11_9 Depth=1
                                        ; =>  This Inner Loop Header: Depth=2
	ds_load_b128 v[26:29], v24
	ds_load_b128 v[38:41], v25
	v_dual_add_nc_u32 v25, 16, v25 :: v_dual_add_nc_u32 v24, 16, v24
	s_add_co_i32 s28, s28, -1
	s_delay_alu instid0(SALU_CYCLE_1) | instskip(SKIP_3) | instid1(VALU_DEP_2)
	s_cmp_lg_u32 s28, 0
	s_wait_dscnt 0x0
	v_fmac_f64_e32 v[20:21], v[26:27], v[38:39]
	v_fmac_f64_e32 v[12:13], v[28:29], v[38:39]
	v_fma_f64 v[20:21], -v[28:29], v[40:41], v[20:21]
	s_delay_alu instid0(VALU_DEP_2)
	v_fmac_f64_e32 v[12:13], v[26:27], v[40:41]
	s_cbranch_scc1 .LBB11_29
.LBB11_30:                              ;   in Loop: Header=BB11_9 Depth=1
	s_or_b32 exec_lo, exec_lo, s27
	s_and_saveexec_b32 s27, s26
	s_cbranch_execz .LBB11_7
; %bb.31:                               ;   in Loop: Header=BB11_9 Depth=1
	v_dual_mov_b32 v24, v32 :: v_dual_mov_b32 v25, v37
	s_mov_b32 s28, s21
.LBB11_32:                              ;   Parent Loop BB11_9 Depth=1
                                        ; =>  This Inner Loop Header: Depth=2
	ds_load_b128 v[26:29], v24
	ds_load_b128 v[38:41], v25
	v_dual_add_nc_u32 v25, 16, v25 :: v_dual_add_nc_u32 v24, 16, v24
	s_add_co_i32 s28, s28, -1
	s_delay_alu instid0(SALU_CYCLE_1) | instskip(SKIP_3) | instid1(VALU_DEP_2)
	s_cmp_lg_u32 s28, 0
	s_wait_dscnt 0x0
	v_fmac_f64_e32 v[16:17], v[26:27], v[38:39]
	v_fmac_f64_e32 v[18:19], v[28:29], v[38:39]
	v_fma_f64 v[16:17], -v[28:29], v[40:41], v[16:17]
	s_delay_alu instid0(VALU_DEP_2)
	v_fmac_f64_e32 v[18:19], v[26:27], v[40:41]
	s_cbranch_scc1 .LBB11_32
	s_branch .LBB11_7
.LBB11_33:
	s_load_b64 s[6:7], s[0:1], 0x60
	s_and_b32 s4, s24, s4
	s_delay_alu instid0(SALU_CYCLE_1)
	s_and_b32 exec_lo, exec_lo, s4
	s_cbranch_execz .LBB11_44
; %bb.34:
	s_wait_loadcnt_dscnt 0x0
	v_cmp_neq_f64_e32 vcc_lo, 0, v[2:3]
	v_cmp_neq_f64_e64 s4, 0, v[4:5]
	v_mad_u32 v10, s20, s10, v30
	s_wait_xcnt 0x0
	s_load_b64 s[0:1], s[0:1], 0x68
	s_delay_alu instid0(VALU_DEP_1) | instskip(SKIP_1) | instid1(VALU_DEP_1)
	v_ashrrev_i32_e32 v11, 31, v10
	s_wait_kmcnt 0x0
	v_lshl_add_u64 v[22:23], v[10:11], 4, s[6:7]
	s_or_b32 s4, vcc_lo, s4
	s_and_saveexec_b32 s5, s3
	s_cbranch_execz .LBB11_39
; %bb.35:
	v_dual_mul_f64 v[10:11], v[12:13], -v[8:9] :: v_dual_ashrrev_i32 v15, 31, v14
	v_mul_f64_e32 v[12:13], v[6:7], v[12:13]
	s_delay_alu instid0(VALU_DEP_2) | instskip(NEXT) | instid1(VALU_DEP_2)
	v_fmac_f64_e32 v[10:11], v[6:7], v[20:21]
	v_fmac_f64_e32 v[12:13], v[8:9], v[20:21]
	s_and_saveexec_b32 s3, s4
	s_delay_alu instid0(SALU_CYCLE_1)
	s_xor_b32 s3, exec_lo, s3
	s_cbranch_execz .LBB11_37
; %bb.36:
	v_mul_u64_e32 v[14:15], s[0:1], v[14:15]
	s_delay_alu instid0(VALU_DEP_1) | instskip(SKIP_4) | instid1(VALU_DEP_2)
	v_lshl_add_u64 v[14:15], v[14:15], 4, v[22:23]
	global_load_b128 v[24:27], v[14:15], off
	s_wait_loadcnt 0x0
	v_fmac_f64_e32 v[10:11], v[2:3], v[24:25]
	v_fmac_f64_e32 v[12:13], v[4:5], v[24:25]
	v_fma_f64 v[10:11], -v[4:5], v[26:27], v[10:11]
	s_delay_alu instid0(VALU_DEP_2)
	v_fmac_f64_e32 v[12:13], v[2:3], v[26:27]
	global_store_b128 v[14:15], v[10:13], off
                                        ; implicit-def: $vgpr14
                                        ; implicit-def: $vgpr10_vgpr11
.LBB11_37:
	s_wait_xcnt 0x0
	s_and_not1_saveexec_b32 s3, s3
	s_cbranch_execz .LBB11_39
; %bb.38:
	v_mul_u64_e32 v[14:15], s[0:1], v[14:15]
	s_delay_alu instid0(VALU_DEP_1)
	v_lshl_add_u64 v[14:15], v[14:15], 4, v[22:23]
	global_store_b128 v[14:15], v[10:13], off
.LBB11_39:
	s_wait_xcnt 0x0
	s_or_b32 exec_lo, exec_lo, s5
	s_delay_alu instid0(SALU_CYCLE_1)
	s_and_b32 exec_lo, exec_lo, s2
	s_cbranch_execz .LBB11_44
; %bb.40:
	v_mul_f64_e64 v[10:11], v[18:19], -v[8:9]
	v_dual_mul_f64 v[12:13], v[6:7], v[18:19] :: v_dual_ashrrev_i32 v1, 31, v0
	s_delay_alu instid0(VALU_DEP_2) | instskip(NEXT) | instid1(VALU_DEP_2)
	v_fmac_f64_e32 v[10:11], v[6:7], v[16:17]
	v_fmac_f64_e32 v[12:13], v[8:9], v[16:17]
	s_and_saveexec_b32 s2, s4
	s_delay_alu instid0(SALU_CYCLE_1)
	s_xor_b32 s2, exec_lo, s2
	s_cbranch_execz .LBB11_42
; %bb.41:
	v_mul_u64_e32 v[0:1], s[0:1], v[0:1]
	s_delay_alu instid0(VALU_DEP_1) | instskip(SKIP_4) | instid1(VALU_DEP_2)
	v_lshl_add_u64 v[0:1], v[0:1], 4, v[22:23]
                                        ; implicit-def: $vgpr22_vgpr23
	global_load_b128 v[6:9], v[0:1], off
	s_wait_loadcnt 0x0
	v_fmac_f64_e32 v[10:11], v[2:3], v[6:7]
	v_fmac_f64_e32 v[12:13], v[4:5], v[6:7]
	v_fma_f64 v[10:11], -v[4:5], v[8:9], v[10:11]
	s_delay_alu instid0(VALU_DEP_2)
	v_fmac_f64_e32 v[12:13], v[2:3], v[8:9]
	global_store_b128 v[0:1], v[10:13], off
                                        ; implicit-def: $vgpr0
                                        ; implicit-def: $vgpr10_vgpr11
.LBB11_42:
	s_wait_xcnt 0x0
	s_and_not1_saveexec_b32 s2, s2
	s_cbranch_execz .LBB11_44
; %bb.43:
	v_mul_u64_e32 v[0:1], s[0:1], v[0:1]
	s_delay_alu instid0(VALU_DEP_1)
	v_lshl_add_u64 v[0:1], v[0:1], 4, v[22:23]
	global_store_b128 v[0:1], v[10:13], off
.LBB11_44:
	s_endpgm
	.section	.rodata,"a",@progbits
	.p2align	6, 0x0
	.amdhsa_kernel _ZN9rocsparseL33gebsrmm_large_blockdim_kernel_extILi32ELi32ELi2E21rocsparse_complex_numIdEEEv20rocsparse_direction_20rocsparse_operation_iiNS_24const_host_device_scalarIT2_EEPKiS9_PKS6_iiSB_lS7_PS6_l21rocsparse_index_base_b
		.amdhsa_group_segment_fixed_size 49152
		.amdhsa_private_segment_fixed_size 0
		.amdhsa_kernarg_size 120
		.amdhsa_user_sgpr_count 2
		.amdhsa_user_sgpr_dispatch_ptr 0
		.amdhsa_user_sgpr_queue_ptr 0
		.amdhsa_user_sgpr_kernarg_segment_ptr 1
		.amdhsa_user_sgpr_dispatch_id 0
		.amdhsa_user_sgpr_kernarg_preload_length 0
		.amdhsa_user_sgpr_kernarg_preload_offset 0
		.amdhsa_user_sgpr_private_segment_size 0
		.amdhsa_wavefront_size32 1
		.amdhsa_uses_dynamic_stack 0
		.amdhsa_enable_private_segment 0
		.amdhsa_system_sgpr_workgroup_id_x 1
		.amdhsa_system_sgpr_workgroup_id_y 1
		.amdhsa_system_sgpr_workgroup_id_z 0
		.amdhsa_system_sgpr_workgroup_info 0
		.amdhsa_system_vgpr_workitem_id 1
		.amdhsa_next_free_vgpr 42
		.amdhsa_next_free_sgpr 30
		.amdhsa_named_barrier_count 0
		.amdhsa_reserve_vcc 1
		.amdhsa_float_round_mode_32 0
		.amdhsa_float_round_mode_16_64 0
		.amdhsa_float_denorm_mode_32 3
		.amdhsa_float_denorm_mode_16_64 3
		.amdhsa_fp16_overflow 0
		.amdhsa_memory_ordered 1
		.amdhsa_forward_progress 1
		.amdhsa_inst_pref_size 13
		.amdhsa_round_robin_scheduling 0
		.amdhsa_exception_fp_ieee_invalid_op 0
		.amdhsa_exception_fp_denorm_src 0
		.amdhsa_exception_fp_ieee_div_zero 0
		.amdhsa_exception_fp_ieee_overflow 0
		.amdhsa_exception_fp_ieee_underflow 0
		.amdhsa_exception_fp_ieee_inexact 0
		.amdhsa_exception_int_div_zero 0
	.end_amdhsa_kernel
	.section	.text._ZN9rocsparseL33gebsrmm_large_blockdim_kernel_extILi32ELi32ELi2E21rocsparse_complex_numIdEEEv20rocsparse_direction_20rocsparse_operation_iiNS_24const_host_device_scalarIT2_EEPKiS9_PKS6_iiSB_lS7_PS6_l21rocsparse_index_base_b,"axG",@progbits,_ZN9rocsparseL33gebsrmm_large_blockdim_kernel_extILi32ELi32ELi2E21rocsparse_complex_numIdEEEv20rocsparse_direction_20rocsparse_operation_iiNS_24const_host_device_scalarIT2_EEPKiS9_PKS6_iiSB_lS7_PS6_l21rocsparse_index_base_b,comdat
.Lfunc_end11:
	.size	_ZN9rocsparseL33gebsrmm_large_blockdim_kernel_extILi32ELi32ELi2E21rocsparse_complex_numIdEEEv20rocsparse_direction_20rocsparse_operation_iiNS_24const_host_device_scalarIT2_EEPKiS9_PKS6_iiSB_lS7_PS6_l21rocsparse_index_base_b, .Lfunc_end11-_ZN9rocsparseL33gebsrmm_large_blockdim_kernel_extILi32ELi32ELi2E21rocsparse_complex_numIdEEEv20rocsparse_direction_20rocsparse_operation_iiNS_24const_host_device_scalarIT2_EEPKiS9_PKS6_iiSB_lS7_PS6_l21rocsparse_index_base_b
                                        ; -- End function
	.set _ZN9rocsparseL33gebsrmm_large_blockdim_kernel_extILi32ELi32ELi2E21rocsparse_complex_numIdEEEv20rocsparse_direction_20rocsparse_operation_iiNS_24const_host_device_scalarIT2_EEPKiS9_PKS6_iiSB_lS7_PS6_l21rocsparse_index_base_b.num_vgpr, 42
	.set _ZN9rocsparseL33gebsrmm_large_blockdim_kernel_extILi32ELi32ELi2E21rocsparse_complex_numIdEEEv20rocsparse_direction_20rocsparse_operation_iiNS_24const_host_device_scalarIT2_EEPKiS9_PKS6_iiSB_lS7_PS6_l21rocsparse_index_base_b.num_agpr, 0
	.set _ZN9rocsparseL33gebsrmm_large_blockdim_kernel_extILi32ELi32ELi2E21rocsparse_complex_numIdEEEv20rocsparse_direction_20rocsparse_operation_iiNS_24const_host_device_scalarIT2_EEPKiS9_PKS6_iiSB_lS7_PS6_l21rocsparse_index_base_b.numbered_sgpr, 30
	.set _ZN9rocsparseL33gebsrmm_large_blockdim_kernel_extILi32ELi32ELi2E21rocsparse_complex_numIdEEEv20rocsparse_direction_20rocsparse_operation_iiNS_24const_host_device_scalarIT2_EEPKiS9_PKS6_iiSB_lS7_PS6_l21rocsparse_index_base_b.num_named_barrier, 0
	.set _ZN9rocsparseL33gebsrmm_large_blockdim_kernel_extILi32ELi32ELi2E21rocsparse_complex_numIdEEEv20rocsparse_direction_20rocsparse_operation_iiNS_24const_host_device_scalarIT2_EEPKiS9_PKS6_iiSB_lS7_PS6_l21rocsparse_index_base_b.private_seg_size, 0
	.set _ZN9rocsparseL33gebsrmm_large_blockdim_kernel_extILi32ELi32ELi2E21rocsparse_complex_numIdEEEv20rocsparse_direction_20rocsparse_operation_iiNS_24const_host_device_scalarIT2_EEPKiS9_PKS6_iiSB_lS7_PS6_l21rocsparse_index_base_b.uses_vcc, 1
	.set _ZN9rocsparseL33gebsrmm_large_blockdim_kernel_extILi32ELi32ELi2E21rocsparse_complex_numIdEEEv20rocsparse_direction_20rocsparse_operation_iiNS_24const_host_device_scalarIT2_EEPKiS9_PKS6_iiSB_lS7_PS6_l21rocsparse_index_base_b.uses_flat_scratch, 0
	.set _ZN9rocsparseL33gebsrmm_large_blockdim_kernel_extILi32ELi32ELi2E21rocsparse_complex_numIdEEEv20rocsparse_direction_20rocsparse_operation_iiNS_24const_host_device_scalarIT2_EEPKiS9_PKS6_iiSB_lS7_PS6_l21rocsparse_index_base_b.has_dyn_sized_stack, 0
	.set _ZN9rocsparseL33gebsrmm_large_blockdim_kernel_extILi32ELi32ELi2E21rocsparse_complex_numIdEEEv20rocsparse_direction_20rocsparse_operation_iiNS_24const_host_device_scalarIT2_EEPKiS9_PKS6_iiSB_lS7_PS6_l21rocsparse_index_base_b.has_recursion, 0
	.set _ZN9rocsparseL33gebsrmm_large_blockdim_kernel_extILi32ELi32ELi2E21rocsparse_complex_numIdEEEv20rocsparse_direction_20rocsparse_operation_iiNS_24const_host_device_scalarIT2_EEPKiS9_PKS6_iiSB_lS7_PS6_l21rocsparse_index_base_b.has_indirect_call, 0
	.section	.AMDGPU.csdata,"",@progbits
; Kernel info:
; codeLenInByte = 1640
; TotalNumSgprs: 32
; NumVgprs: 42
; ScratchSize: 0
; MemoryBound: 0
; FloatMode: 240
; IeeeMode: 1
; LDSByteSize: 49152 bytes/workgroup (compile time only)
; SGPRBlocks: 0
; VGPRBlocks: 2
; NumSGPRsForWavesPerEU: 32
; NumVGPRsForWavesPerEU: 42
; NamedBarCnt: 0
; Occupancy: 16
; WaveLimiterHint : 0
; COMPUTE_PGM_RSRC2:SCRATCH_EN: 0
; COMPUTE_PGM_RSRC2:USER_SGPR: 2
; COMPUTE_PGM_RSRC2:TRAP_HANDLER: 0
; COMPUTE_PGM_RSRC2:TGID_X_EN: 1
; COMPUTE_PGM_RSRC2:TGID_Y_EN: 1
; COMPUTE_PGM_RSRC2:TGID_Z_EN: 0
; COMPUTE_PGM_RSRC2:TIDIG_COMP_CNT: 1
	.section	.AMDGPU.gpr_maximums,"",@progbits
	.set amdgpu.max_num_vgpr, 0
	.set amdgpu.max_num_agpr, 0
	.set amdgpu.max_num_sgpr, 0
	.section	.AMDGPU.csdata,"",@progbits
	.type	__hip_cuid_617d1ba054249208,@object ; @__hip_cuid_617d1ba054249208
	.section	.bss,"aw",@nobits
	.globl	__hip_cuid_617d1ba054249208
__hip_cuid_617d1ba054249208:
	.byte	0                               ; 0x0
	.size	__hip_cuid_617d1ba054249208, 1

	.ident	"AMD clang version 22.0.0git (https://github.com/RadeonOpenCompute/llvm-project roc-7.2.4 26084 f58b06dce1f9c15707c5f808fd002e18c2accf7e)"
	.section	".note.GNU-stack","",@progbits
	.addrsig
	.addrsig_sym __hip_cuid_617d1ba054249208
	.amdgpu_metadata
---
amdhsa.kernels:
  - .args:
      - .offset:         0
        .size:           4
        .value_kind:     by_value
      - .offset:         4
        .size:           4
        .value_kind:     by_value
      - .offset:         8
        .size:           4
        .value_kind:     by_value
      - .offset:         12
        .size:           4
        .value_kind:     by_value
      - .offset:         16
        .size:           8
        .value_kind:     by_value
      - .actual_access:  read_only
        .address_space:  global
        .offset:         24
        .size:           8
        .value_kind:     global_buffer
      - .actual_access:  read_only
        .address_space:  global
        .offset:         32
        .size:           8
        .value_kind:     global_buffer
      - .actual_access:  read_only
        .address_space:  global
        .offset:         40
        .size:           8
        .value_kind:     global_buffer
      - .offset:         48
        .size:           4
        .value_kind:     by_value
      - .offset:         52
        .size:           4
        .value_kind:     by_value
      - .actual_access:  read_only
        .address_space:  global
        .offset:         56
        .size:           8
        .value_kind:     global_buffer
      - .offset:         64
        .size:           8
        .value_kind:     by_value
      - .offset:         72
        .size:           8
        .value_kind:     by_value
      - .address_space:  global
        .offset:         80
        .size:           8
        .value_kind:     global_buffer
      - .offset:         88
        .size:           8
        .value_kind:     by_value
      - .offset:         96
        .size:           4
        .value_kind:     by_value
      - .offset:         100
        .size:           1
        .value_kind:     by_value
    .group_segment_fixed_size: 768
    .kernarg_segment_align: 8
    .kernarg_segment_size: 104
    .language:       OpenCL C
    .language_version:
      - 2
      - 0
    .max_flat_workgroup_size: 64
    .name:           _ZN9rocsparseL33gebsrmm_large_blockdim_kernel_extILi8ELi8ELi2EfEEv20rocsparse_direction_20rocsparse_operation_iiNS_24const_host_device_scalarIT2_EEPKiS7_PKS4_iiS9_lS5_PS4_l21rocsparse_index_base_b
    .private_segment_fixed_size: 0
    .sgpr_count:     34
    .sgpr_spill_count: 0
    .symbol:         _ZN9rocsparseL33gebsrmm_large_blockdim_kernel_extILi8ELi8ELi2EfEEv20rocsparse_direction_20rocsparse_operation_iiNS_24const_host_device_scalarIT2_EEPKiS7_PKS4_iiS9_lS5_PS4_l21rocsparse_index_base_b.kd
    .uniform_work_group_size: 1
    .uses_dynamic_stack: false
    .vgpr_count:     23
    .vgpr_spill_count: 0
    .wavefront_size: 32
  - .args:
      - .offset:         0
        .size:           4
        .value_kind:     by_value
      - .offset:         4
        .size:           4
        .value_kind:     by_value
      - .offset:         8
        .size:           4
        .value_kind:     by_value
      - .offset:         12
        .size:           4
        .value_kind:     by_value
      - .offset:         16
        .size:           8
        .value_kind:     by_value
      - .actual_access:  read_only
        .address_space:  global
        .offset:         24
        .size:           8
        .value_kind:     global_buffer
      - .actual_access:  read_only
        .address_space:  global
        .offset:         32
        .size:           8
        .value_kind:     global_buffer
      - .actual_access:  read_only
        .address_space:  global
        .offset:         40
        .size:           8
        .value_kind:     global_buffer
      - .offset:         48
        .size:           4
        .value_kind:     by_value
      - .offset:         52
        .size:           4
        .value_kind:     by_value
      - .actual_access:  read_only
        .address_space:  global
        .offset:         56
        .size:           8
        .value_kind:     global_buffer
      - .offset:         64
        .size:           8
        .value_kind:     by_value
      - .offset:         72
        .size:           8
        .value_kind:     by_value
      - .address_space:  global
        .offset:         80
        .size:           8
        .value_kind:     global_buffer
      - .offset:         88
        .size:           8
        .value_kind:     by_value
      - .offset:         96
        .size:           4
        .value_kind:     by_value
      - .offset:         100
        .size:           1
        .value_kind:     by_value
    .group_segment_fixed_size: 3072
    .kernarg_segment_align: 8
    .kernarg_segment_size: 104
    .language:       OpenCL C
    .language_version:
      - 2
      - 0
    .max_flat_workgroup_size: 256
    .name:           _ZN9rocsparseL33gebsrmm_large_blockdim_kernel_extILi16ELi16ELi2EfEEv20rocsparse_direction_20rocsparse_operation_iiNS_24const_host_device_scalarIT2_EEPKiS7_PKS4_iiS9_lS5_PS4_l21rocsparse_index_base_b
    .private_segment_fixed_size: 0
    .sgpr_count:     34
    .sgpr_spill_count: 0
    .symbol:         _ZN9rocsparseL33gebsrmm_large_blockdim_kernel_extILi16ELi16ELi2EfEEv20rocsparse_direction_20rocsparse_operation_iiNS_24const_host_device_scalarIT2_EEPKiS7_PKS4_iiS9_lS5_PS4_l21rocsparse_index_base_b.kd
    .uniform_work_group_size: 1
    .uses_dynamic_stack: false
    .vgpr_count:     23
    .vgpr_spill_count: 0
    .wavefront_size: 32
  - .args:
      - .offset:         0
        .size:           4
        .value_kind:     by_value
      - .offset:         4
        .size:           4
        .value_kind:     by_value
      - .offset:         8
        .size:           4
        .value_kind:     by_value
      - .offset:         12
        .size:           4
        .value_kind:     by_value
      - .offset:         16
        .size:           8
        .value_kind:     by_value
      - .actual_access:  read_only
        .address_space:  global
        .offset:         24
        .size:           8
        .value_kind:     global_buffer
      - .actual_access:  read_only
        .address_space:  global
        .offset:         32
        .size:           8
        .value_kind:     global_buffer
      - .actual_access:  read_only
        .address_space:  global
        .offset:         40
        .size:           8
        .value_kind:     global_buffer
      - .offset:         48
        .size:           4
        .value_kind:     by_value
      - .offset:         52
        .size:           4
        .value_kind:     by_value
      - .actual_access:  read_only
        .address_space:  global
        .offset:         56
        .size:           8
        .value_kind:     global_buffer
      - .offset:         64
        .size:           8
        .value_kind:     by_value
      - .offset:         72
        .size:           8
        .value_kind:     by_value
      - .address_space:  global
        .offset:         80
        .size:           8
        .value_kind:     global_buffer
      - .offset:         88
        .size:           8
        .value_kind:     by_value
      - .offset:         96
        .size:           4
        .value_kind:     by_value
      - .offset:         100
        .size:           1
        .value_kind:     by_value
    .group_segment_fixed_size: 12288
    .kernarg_segment_align: 8
    .kernarg_segment_size: 104
    .language:       OpenCL C
    .language_version:
      - 2
      - 0
    .max_flat_workgroup_size: 1024
    .name:           _ZN9rocsparseL33gebsrmm_large_blockdim_kernel_extILi32ELi32ELi2EfEEv20rocsparse_direction_20rocsparse_operation_iiNS_24const_host_device_scalarIT2_EEPKiS7_PKS4_iiS9_lS5_PS4_l21rocsparse_index_base_b
    .private_segment_fixed_size: 0
    .sgpr_count:     34
    .sgpr_spill_count: 0
    .symbol:         _ZN9rocsparseL33gebsrmm_large_blockdim_kernel_extILi32ELi32ELi2EfEEv20rocsparse_direction_20rocsparse_operation_iiNS_24const_host_device_scalarIT2_EEPKiS7_PKS4_iiS9_lS5_PS4_l21rocsparse_index_base_b.kd
    .uniform_work_group_size: 1
    .uses_dynamic_stack: false
    .vgpr_count:     23
    .vgpr_spill_count: 0
    .wavefront_size: 32
  - .args:
      - .offset:         0
        .size:           4
        .value_kind:     by_value
      - .offset:         4
        .size:           4
        .value_kind:     by_value
      - .offset:         8
        .size:           4
        .value_kind:     by_value
      - .offset:         12
        .size:           4
        .value_kind:     by_value
      - .offset:         16
        .size:           8
        .value_kind:     by_value
      - .actual_access:  read_only
        .address_space:  global
        .offset:         24
        .size:           8
        .value_kind:     global_buffer
      - .actual_access:  read_only
        .address_space:  global
        .offset:         32
        .size:           8
        .value_kind:     global_buffer
      - .actual_access:  read_only
        .address_space:  global
        .offset:         40
        .size:           8
        .value_kind:     global_buffer
      - .offset:         48
        .size:           4
        .value_kind:     by_value
      - .offset:         52
        .size:           4
        .value_kind:     by_value
      - .actual_access:  read_only
        .address_space:  global
        .offset:         56
        .size:           8
        .value_kind:     global_buffer
      - .offset:         64
        .size:           8
        .value_kind:     by_value
      - .offset:         72
        .size:           8
        .value_kind:     by_value
      - .address_space:  global
        .offset:         80
        .size:           8
        .value_kind:     global_buffer
      - .offset:         88
        .size:           8
        .value_kind:     by_value
      - .offset:         96
        .size:           4
        .value_kind:     by_value
      - .offset:         100
        .size:           1
        .value_kind:     by_value
    .group_segment_fixed_size: 1536
    .kernarg_segment_align: 8
    .kernarg_segment_size: 104
    .language:       OpenCL C
    .language_version:
      - 2
      - 0
    .max_flat_workgroup_size: 64
    .name:           _ZN9rocsparseL33gebsrmm_large_blockdim_kernel_extILi8ELi8ELi2EdEEv20rocsparse_direction_20rocsparse_operation_iiNS_24const_host_device_scalarIT2_EEPKiS7_PKS4_iiS9_lS5_PS4_l21rocsparse_index_base_b
    .private_segment_fixed_size: 0
    .sgpr_count:     32
    .sgpr_spill_count: 0
    .symbol:         _ZN9rocsparseL33gebsrmm_large_blockdim_kernel_extILi8ELi8ELi2EdEEv20rocsparse_direction_20rocsparse_operation_iiNS_24const_host_device_scalarIT2_EEPKiS7_PKS4_iiS9_lS5_PS4_l21rocsparse_index_base_b.kd
    .uniform_work_group_size: 1
    .uses_dynamic_stack: false
    .vgpr_count:     29
    .vgpr_spill_count: 0
    .wavefront_size: 32
  - .args:
      - .offset:         0
        .size:           4
        .value_kind:     by_value
      - .offset:         4
        .size:           4
        .value_kind:     by_value
      - .offset:         8
        .size:           4
        .value_kind:     by_value
      - .offset:         12
        .size:           4
        .value_kind:     by_value
      - .offset:         16
        .size:           8
        .value_kind:     by_value
      - .actual_access:  read_only
        .address_space:  global
        .offset:         24
        .size:           8
        .value_kind:     global_buffer
      - .actual_access:  read_only
        .address_space:  global
        .offset:         32
        .size:           8
        .value_kind:     global_buffer
      - .actual_access:  read_only
        .address_space:  global
        .offset:         40
        .size:           8
        .value_kind:     global_buffer
      - .offset:         48
        .size:           4
        .value_kind:     by_value
      - .offset:         52
        .size:           4
        .value_kind:     by_value
      - .actual_access:  read_only
        .address_space:  global
        .offset:         56
        .size:           8
        .value_kind:     global_buffer
      - .offset:         64
        .size:           8
        .value_kind:     by_value
      - .offset:         72
        .size:           8
        .value_kind:     by_value
      - .address_space:  global
        .offset:         80
        .size:           8
        .value_kind:     global_buffer
      - .offset:         88
        .size:           8
        .value_kind:     by_value
      - .offset:         96
        .size:           4
        .value_kind:     by_value
      - .offset:         100
        .size:           1
        .value_kind:     by_value
    .group_segment_fixed_size: 6144
    .kernarg_segment_align: 8
    .kernarg_segment_size: 104
    .language:       OpenCL C
    .language_version:
      - 2
      - 0
    .max_flat_workgroup_size: 256
    .name:           _ZN9rocsparseL33gebsrmm_large_blockdim_kernel_extILi16ELi16ELi2EdEEv20rocsparse_direction_20rocsparse_operation_iiNS_24const_host_device_scalarIT2_EEPKiS7_PKS4_iiS9_lS5_PS4_l21rocsparse_index_base_b
    .private_segment_fixed_size: 0
    .sgpr_count:     32
    .sgpr_spill_count: 0
    .symbol:         _ZN9rocsparseL33gebsrmm_large_blockdim_kernel_extILi16ELi16ELi2EdEEv20rocsparse_direction_20rocsparse_operation_iiNS_24const_host_device_scalarIT2_EEPKiS7_PKS4_iiS9_lS5_PS4_l21rocsparse_index_base_b.kd
    .uniform_work_group_size: 1
    .uses_dynamic_stack: false
    .vgpr_count:     29
    .vgpr_spill_count: 0
    .wavefront_size: 32
  - .args:
      - .offset:         0
        .size:           4
        .value_kind:     by_value
      - .offset:         4
        .size:           4
        .value_kind:     by_value
      - .offset:         8
        .size:           4
        .value_kind:     by_value
      - .offset:         12
        .size:           4
        .value_kind:     by_value
      - .offset:         16
        .size:           8
        .value_kind:     by_value
      - .actual_access:  read_only
        .address_space:  global
        .offset:         24
        .size:           8
        .value_kind:     global_buffer
      - .actual_access:  read_only
        .address_space:  global
        .offset:         32
        .size:           8
        .value_kind:     global_buffer
      - .actual_access:  read_only
        .address_space:  global
        .offset:         40
        .size:           8
        .value_kind:     global_buffer
      - .offset:         48
        .size:           4
        .value_kind:     by_value
      - .offset:         52
        .size:           4
        .value_kind:     by_value
      - .actual_access:  read_only
        .address_space:  global
        .offset:         56
        .size:           8
        .value_kind:     global_buffer
      - .offset:         64
        .size:           8
        .value_kind:     by_value
      - .offset:         72
        .size:           8
        .value_kind:     by_value
      - .address_space:  global
        .offset:         80
        .size:           8
        .value_kind:     global_buffer
      - .offset:         88
        .size:           8
        .value_kind:     by_value
      - .offset:         96
        .size:           4
        .value_kind:     by_value
      - .offset:         100
        .size:           1
        .value_kind:     by_value
    .group_segment_fixed_size: 24576
    .kernarg_segment_align: 8
    .kernarg_segment_size: 104
    .language:       OpenCL C
    .language_version:
      - 2
      - 0
    .max_flat_workgroup_size: 1024
    .name:           _ZN9rocsparseL33gebsrmm_large_blockdim_kernel_extILi32ELi32ELi2EdEEv20rocsparse_direction_20rocsparse_operation_iiNS_24const_host_device_scalarIT2_EEPKiS7_PKS4_iiS9_lS5_PS4_l21rocsparse_index_base_b
    .private_segment_fixed_size: 0
    .sgpr_count:     32
    .sgpr_spill_count: 0
    .symbol:         _ZN9rocsparseL33gebsrmm_large_blockdim_kernel_extILi32ELi32ELi2EdEEv20rocsparse_direction_20rocsparse_operation_iiNS_24const_host_device_scalarIT2_EEPKiS7_PKS4_iiS9_lS5_PS4_l21rocsparse_index_base_b.kd
    .uniform_work_group_size: 1
    .uses_dynamic_stack: false
    .vgpr_count:     29
    .vgpr_spill_count: 0
    .wavefront_size: 32
  - .args:
      - .offset:         0
        .size:           4
        .value_kind:     by_value
      - .offset:         4
        .size:           4
        .value_kind:     by_value
      - .offset:         8
        .size:           4
        .value_kind:     by_value
      - .offset:         12
        .size:           4
        .value_kind:     by_value
      - .offset:         16
        .size:           8
        .value_kind:     by_value
      - .actual_access:  read_only
        .address_space:  global
        .offset:         24
        .size:           8
        .value_kind:     global_buffer
      - .actual_access:  read_only
        .address_space:  global
        .offset:         32
        .size:           8
        .value_kind:     global_buffer
      - .actual_access:  read_only
        .address_space:  global
        .offset:         40
        .size:           8
        .value_kind:     global_buffer
      - .offset:         48
        .size:           4
        .value_kind:     by_value
      - .offset:         52
        .size:           4
        .value_kind:     by_value
      - .actual_access:  read_only
        .address_space:  global
        .offset:         56
        .size:           8
        .value_kind:     global_buffer
      - .offset:         64
        .size:           8
        .value_kind:     by_value
      - .offset:         72
        .size:           8
        .value_kind:     by_value
      - .address_space:  global
        .offset:         80
        .size:           8
        .value_kind:     global_buffer
      - .offset:         88
        .size:           8
        .value_kind:     by_value
      - .offset:         96
        .size:           4
        .value_kind:     by_value
      - .offset:         100
        .size:           1
        .value_kind:     by_value
    .group_segment_fixed_size: 1536
    .kernarg_segment_align: 8
    .kernarg_segment_size: 104
    .language:       OpenCL C
    .language_version:
      - 2
      - 0
    .max_flat_workgroup_size: 64
    .name:           _ZN9rocsparseL33gebsrmm_large_blockdim_kernel_extILi8ELi8ELi2E21rocsparse_complex_numIfEEEv20rocsparse_direction_20rocsparse_operation_iiNS_24const_host_device_scalarIT2_EEPKiS9_PKS6_iiSB_lS7_PS6_l21rocsparse_index_base_b
    .private_segment_fixed_size: 0
    .sgpr_count:     34
    .sgpr_spill_count: 0
    .symbol:         _ZN9rocsparseL33gebsrmm_large_blockdim_kernel_extILi8ELi8ELi2E21rocsparse_complex_numIfEEEv20rocsparse_direction_20rocsparse_operation_iiNS_24const_host_device_scalarIT2_EEPKiS9_PKS6_iiSB_lS7_PS6_l21rocsparse_index_base_b.kd
    .uniform_work_group_size: 1
    .uses_dynamic_stack: false
    .vgpr_count:     29
    .vgpr_spill_count: 0
    .wavefront_size: 32
  - .args:
      - .offset:         0
        .size:           4
        .value_kind:     by_value
      - .offset:         4
        .size:           4
        .value_kind:     by_value
      - .offset:         8
        .size:           4
        .value_kind:     by_value
      - .offset:         12
        .size:           4
        .value_kind:     by_value
      - .offset:         16
        .size:           8
        .value_kind:     by_value
      - .actual_access:  read_only
        .address_space:  global
        .offset:         24
        .size:           8
        .value_kind:     global_buffer
      - .actual_access:  read_only
        .address_space:  global
        .offset:         32
        .size:           8
        .value_kind:     global_buffer
      - .actual_access:  read_only
        .address_space:  global
        .offset:         40
        .size:           8
        .value_kind:     global_buffer
      - .offset:         48
        .size:           4
        .value_kind:     by_value
      - .offset:         52
        .size:           4
        .value_kind:     by_value
      - .actual_access:  read_only
        .address_space:  global
        .offset:         56
        .size:           8
        .value_kind:     global_buffer
      - .offset:         64
        .size:           8
        .value_kind:     by_value
      - .offset:         72
        .size:           8
        .value_kind:     by_value
      - .address_space:  global
        .offset:         80
        .size:           8
        .value_kind:     global_buffer
      - .offset:         88
        .size:           8
        .value_kind:     by_value
      - .offset:         96
        .size:           4
        .value_kind:     by_value
      - .offset:         100
        .size:           1
        .value_kind:     by_value
    .group_segment_fixed_size: 6144
    .kernarg_segment_align: 8
    .kernarg_segment_size: 104
    .language:       OpenCL C
    .language_version:
      - 2
      - 0
    .max_flat_workgroup_size: 256
    .name:           _ZN9rocsparseL33gebsrmm_large_blockdim_kernel_extILi16ELi16ELi2E21rocsparse_complex_numIfEEEv20rocsparse_direction_20rocsparse_operation_iiNS_24const_host_device_scalarIT2_EEPKiS9_PKS6_iiSB_lS7_PS6_l21rocsparse_index_base_b
    .private_segment_fixed_size: 0
    .sgpr_count:     34
    .sgpr_spill_count: 0
    .symbol:         _ZN9rocsparseL33gebsrmm_large_blockdim_kernel_extILi16ELi16ELi2E21rocsparse_complex_numIfEEEv20rocsparse_direction_20rocsparse_operation_iiNS_24const_host_device_scalarIT2_EEPKiS9_PKS6_iiSB_lS7_PS6_l21rocsparse_index_base_b.kd
    .uniform_work_group_size: 1
    .uses_dynamic_stack: false
    .vgpr_count:     29
    .vgpr_spill_count: 0
    .wavefront_size: 32
  - .args:
      - .offset:         0
        .size:           4
        .value_kind:     by_value
      - .offset:         4
        .size:           4
        .value_kind:     by_value
      - .offset:         8
        .size:           4
        .value_kind:     by_value
      - .offset:         12
        .size:           4
        .value_kind:     by_value
      - .offset:         16
        .size:           8
        .value_kind:     by_value
      - .actual_access:  read_only
        .address_space:  global
        .offset:         24
        .size:           8
        .value_kind:     global_buffer
      - .actual_access:  read_only
        .address_space:  global
        .offset:         32
        .size:           8
        .value_kind:     global_buffer
      - .actual_access:  read_only
        .address_space:  global
        .offset:         40
        .size:           8
        .value_kind:     global_buffer
      - .offset:         48
        .size:           4
        .value_kind:     by_value
      - .offset:         52
        .size:           4
        .value_kind:     by_value
      - .actual_access:  read_only
        .address_space:  global
        .offset:         56
        .size:           8
        .value_kind:     global_buffer
      - .offset:         64
        .size:           8
        .value_kind:     by_value
      - .offset:         72
        .size:           8
        .value_kind:     by_value
      - .address_space:  global
        .offset:         80
        .size:           8
        .value_kind:     global_buffer
      - .offset:         88
        .size:           8
        .value_kind:     by_value
      - .offset:         96
        .size:           4
        .value_kind:     by_value
      - .offset:         100
        .size:           1
        .value_kind:     by_value
    .group_segment_fixed_size: 24576
    .kernarg_segment_align: 8
    .kernarg_segment_size: 104
    .language:       OpenCL C
    .language_version:
      - 2
      - 0
    .max_flat_workgroup_size: 1024
    .name:           _ZN9rocsparseL33gebsrmm_large_blockdim_kernel_extILi32ELi32ELi2E21rocsparse_complex_numIfEEEv20rocsparse_direction_20rocsparse_operation_iiNS_24const_host_device_scalarIT2_EEPKiS9_PKS6_iiSB_lS7_PS6_l21rocsparse_index_base_b
    .private_segment_fixed_size: 0
    .sgpr_count:     34
    .sgpr_spill_count: 0
    .symbol:         _ZN9rocsparseL33gebsrmm_large_blockdim_kernel_extILi32ELi32ELi2E21rocsparse_complex_numIfEEEv20rocsparse_direction_20rocsparse_operation_iiNS_24const_host_device_scalarIT2_EEPKiS9_PKS6_iiSB_lS7_PS6_l21rocsparse_index_base_b.kd
    .uniform_work_group_size: 1
    .uses_dynamic_stack: false
    .vgpr_count:     29
    .vgpr_spill_count: 0
    .wavefront_size: 32
  - .args:
      - .offset:         0
        .size:           4
        .value_kind:     by_value
      - .offset:         4
        .size:           4
        .value_kind:     by_value
      - .offset:         8
        .size:           4
        .value_kind:     by_value
      - .offset:         12
        .size:           4
        .value_kind:     by_value
      - .offset:         16
        .size:           16
        .value_kind:     by_value
      - .actual_access:  read_only
        .address_space:  global
        .offset:         32
        .size:           8
        .value_kind:     global_buffer
      - .actual_access:  read_only
        .address_space:  global
        .offset:         40
        .size:           8
        .value_kind:     global_buffer
      - .actual_access:  read_only
        .address_space:  global
        .offset:         48
        .size:           8
        .value_kind:     global_buffer
      - .offset:         56
        .size:           4
        .value_kind:     by_value
      - .offset:         60
        .size:           4
        .value_kind:     by_value
      - .actual_access:  read_only
        .address_space:  global
        .offset:         64
        .size:           8
        .value_kind:     global_buffer
      - .offset:         72
        .size:           8
        .value_kind:     by_value
      - .offset:         80
        .size:           16
        .value_kind:     by_value
      - .address_space:  global
        .offset:         96
        .size:           8
        .value_kind:     global_buffer
      - .offset:         104
        .size:           8
        .value_kind:     by_value
      - .offset:         112
        .size:           4
        .value_kind:     by_value
      - .offset:         116
        .size:           1
        .value_kind:     by_value
    .group_segment_fixed_size: 3072
    .kernarg_segment_align: 8
    .kernarg_segment_size: 120
    .language:       OpenCL C
    .language_version:
      - 2
      - 0
    .max_flat_workgroup_size: 64
    .name:           _ZN9rocsparseL33gebsrmm_large_blockdim_kernel_extILi8ELi8ELi2E21rocsparse_complex_numIdEEEv20rocsparse_direction_20rocsparse_operation_iiNS_24const_host_device_scalarIT2_EEPKiS9_PKS6_iiSB_lS7_PS6_l21rocsparse_index_base_b
    .private_segment_fixed_size: 0
    .sgpr_count:     32
    .sgpr_spill_count: 0
    .symbol:         _ZN9rocsparseL33gebsrmm_large_blockdim_kernel_extILi8ELi8ELi2E21rocsparse_complex_numIdEEEv20rocsparse_direction_20rocsparse_operation_iiNS_24const_host_device_scalarIT2_EEPKiS9_PKS6_iiSB_lS7_PS6_l21rocsparse_index_base_b.kd
    .uniform_work_group_size: 1
    .uses_dynamic_stack: false
    .vgpr_count:     42
    .vgpr_spill_count: 0
    .wavefront_size: 32
  - .args:
      - .offset:         0
        .size:           4
        .value_kind:     by_value
      - .offset:         4
        .size:           4
        .value_kind:     by_value
      - .offset:         8
        .size:           4
        .value_kind:     by_value
      - .offset:         12
        .size:           4
        .value_kind:     by_value
      - .offset:         16
        .size:           16
        .value_kind:     by_value
      - .actual_access:  read_only
        .address_space:  global
        .offset:         32
        .size:           8
        .value_kind:     global_buffer
      - .actual_access:  read_only
        .address_space:  global
        .offset:         40
        .size:           8
        .value_kind:     global_buffer
      - .actual_access:  read_only
        .address_space:  global
        .offset:         48
        .size:           8
        .value_kind:     global_buffer
      - .offset:         56
        .size:           4
        .value_kind:     by_value
      - .offset:         60
        .size:           4
        .value_kind:     by_value
      - .actual_access:  read_only
        .address_space:  global
        .offset:         64
        .size:           8
        .value_kind:     global_buffer
      - .offset:         72
        .size:           8
        .value_kind:     by_value
      - .offset:         80
        .size:           16
        .value_kind:     by_value
      - .address_space:  global
        .offset:         96
        .size:           8
        .value_kind:     global_buffer
      - .offset:         104
        .size:           8
        .value_kind:     by_value
      - .offset:         112
        .size:           4
        .value_kind:     by_value
      - .offset:         116
        .size:           1
        .value_kind:     by_value
    .group_segment_fixed_size: 12288
    .kernarg_segment_align: 8
    .kernarg_segment_size: 120
    .language:       OpenCL C
    .language_version:
      - 2
      - 0
    .max_flat_workgroup_size: 256
    .name:           _ZN9rocsparseL33gebsrmm_large_blockdim_kernel_extILi16ELi16ELi2E21rocsparse_complex_numIdEEEv20rocsparse_direction_20rocsparse_operation_iiNS_24const_host_device_scalarIT2_EEPKiS9_PKS6_iiSB_lS7_PS6_l21rocsparse_index_base_b
    .private_segment_fixed_size: 0
    .sgpr_count:     32
    .sgpr_spill_count: 0
    .symbol:         _ZN9rocsparseL33gebsrmm_large_blockdim_kernel_extILi16ELi16ELi2E21rocsparse_complex_numIdEEEv20rocsparse_direction_20rocsparse_operation_iiNS_24const_host_device_scalarIT2_EEPKiS9_PKS6_iiSB_lS7_PS6_l21rocsparse_index_base_b.kd
    .uniform_work_group_size: 1
    .uses_dynamic_stack: false
    .vgpr_count:     42
    .vgpr_spill_count: 0
    .wavefront_size: 32
  - .args:
      - .offset:         0
        .size:           4
        .value_kind:     by_value
      - .offset:         4
        .size:           4
        .value_kind:     by_value
      - .offset:         8
        .size:           4
        .value_kind:     by_value
      - .offset:         12
        .size:           4
        .value_kind:     by_value
      - .offset:         16
        .size:           16
        .value_kind:     by_value
      - .actual_access:  read_only
        .address_space:  global
        .offset:         32
        .size:           8
        .value_kind:     global_buffer
      - .actual_access:  read_only
        .address_space:  global
        .offset:         40
        .size:           8
        .value_kind:     global_buffer
      - .actual_access:  read_only
        .address_space:  global
        .offset:         48
        .size:           8
        .value_kind:     global_buffer
      - .offset:         56
        .size:           4
        .value_kind:     by_value
      - .offset:         60
        .size:           4
        .value_kind:     by_value
      - .actual_access:  read_only
        .address_space:  global
        .offset:         64
        .size:           8
        .value_kind:     global_buffer
      - .offset:         72
        .size:           8
        .value_kind:     by_value
      - .offset:         80
        .size:           16
        .value_kind:     by_value
      - .address_space:  global
        .offset:         96
        .size:           8
        .value_kind:     global_buffer
      - .offset:         104
        .size:           8
        .value_kind:     by_value
      - .offset:         112
        .size:           4
        .value_kind:     by_value
      - .offset:         116
        .size:           1
        .value_kind:     by_value
    .group_segment_fixed_size: 49152
    .kernarg_segment_align: 8
    .kernarg_segment_size: 120
    .language:       OpenCL C
    .language_version:
      - 2
      - 0
    .max_flat_workgroup_size: 1024
    .name:           _ZN9rocsparseL33gebsrmm_large_blockdim_kernel_extILi32ELi32ELi2E21rocsparse_complex_numIdEEEv20rocsparse_direction_20rocsparse_operation_iiNS_24const_host_device_scalarIT2_EEPKiS9_PKS6_iiSB_lS7_PS6_l21rocsparse_index_base_b
    .private_segment_fixed_size: 0
    .sgpr_count:     32
    .sgpr_spill_count: 0
    .symbol:         _ZN9rocsparseL33gebsrmm_large_blockdim_kernel_extILi32ELi32ELi2E21rocsparse_complex_numIdEEEv20rocsparse_direction_20rocsparse_operation_iiNS_24const_host_device_scalarIT2_EEPKiS9_PKS6_iiSB_lS7_PS6_l21rocsparse_index_base_b.kd
    .uniform_work_group_size: 1
    .uses_dynamic_stack: false
    .vgpr_count:     42
    .vgpr_spill_count: 0
    .wavefront_size: 32
amdhsa.target:   amdgcn-amd-amdhsa--gfx1250
amdhsa.version:
  - 1
  - 2
...

	.end_amdgpu_metadata
